;; amdgpu-corpus repo=ROCm/aiter kind=harvested arch=n/a opt=n/a

/root/src/amdgpu-assembly/repos/ROCm__aiter/hsa/gfx942/pa/pa_bf16_pertokenFp8_gqa10_1tg_4w_qlen2_msk1.co:	file format elf64-amdgpu

Disassembly of section .text:

0000000000002100 <_ZN5aiter43pa_bf16_pertokenFp8_gqa10_1tg_4w_qlen2_msk1E>:
	s_and_b32 s1, s1, 0xffff                                   // 000000002100: 8601FF01 0000FFFF
	s_load_dwordx2 s[4:5], s[0:1], 0x0                         // 000000002108: C0060100 00000000
	s_load_dwordx2 s[8:9], s[0:1], 0x10                        // 000000002110: C0060200 00000010
	s_load_dwordx2 s[12:13], s[0:1], 0x20                      // 000000002118: C0060300 00000020
	s_load_dwordx2 s[16:17], s[0:1], 0x30                      // 000000002120: C0060400 00000030
	s_load_dwordx2 s[20:21], s[0:1], 0x40                      // 000000002128: C0060500 00000040
	s_load_dwordx2 s[24:25], s[0:1], 0x50                      // 000000002130: C0060600 00000050
	s_load_dwordx2 s[28:29], s[0:1], 0x60                      // 000000002138: C0060700 00000060
	s_load_dwordx2 s[32:33], s[0:1], 0x70                      // 000000002140: C0060800 00000070
	s_load_dword s51, s[0:1], 0x80                             // 000000002148: C0020CC0 00000080
	s_load_dword s52, s[0:1], 0x90                             // 000000002150: C0020D00 00000090
	s_load_dword s53, s[0:1], 0xa0                             // 000000002158: C0020D40 000000A0
	s_load_dword s54, s[0:1], 0xb0                             // 000000002160: C0020D80 000000B0
	s_load_dword s56, s[0:1], 0xc0                             // 000000002168: C0020E00 000000C0
	s_load_dword s57, s[0:1], 0xd0                             // 000000002170: C0020E40 000000D0
	v_lshrrev_b32_e32 v1, 10, v0                               // 000000002178: 2002008A
	v_lshrrev_b32_e32 v2, 10, v1                               // 00000000217C: 2004028A
	v_and_b32_e32 v2, 0x3ff, v2                                // 000000002180: 260404FF 000003FF
	v_and_b32_e32 v1, 0x3ff, v1                                // 000000002188: 260202FF 000003FF
	v_and_b32_e32 v0, 0x3ff, v0                                // 000000002190: 260000FF 000003FF
	v_lshrrev_b32_e32 v3, 6, v0                                // 000000002198: 20060086
	v_and_b32_e32 v0, 63, v0                                   // 00000000219C: 260000BF
	s_mov_b32 s47, s2                                          // 0000000021A0: BEAF0002
	s_mov_b32 s48, s3                                          // 0000000021A4: BEB00003
	v_readfirstlane_b32 s46, v3                                // 0000000021A8: 7E5C0503
	s_mov_b32 s42, 0x7060302                                   // 0000000021AC: BEAA00FF 07060302
	s_mov_b32 s43, 0x400                                       // 0000000021B4: BEAB00FF 00000400
	s_mov_b32 s44, 0x40100                                     // 0000000021BC: BEAC00FF 00040100
	s_mov_b32 s45, 0x4020100                                   // 0000000021C4: BEAD00FF 04020100
	v_mov_b32_e32 v189, 0xffff0000                             // 0000000021CC: 7F7A02FF FFFF0000
	v_mov_b32_e32 v190, 0x7fff0000                             // 0000000021D4: 7F7C02FF 7FFF0000
	v_mov_b32_e32 v191, 0x7fff                                 // 0000000021DC: 7F7E02FF 00007FFF
	v_mov_b32_e32 v195, 0xff800000                             // 0000000021E4: 7F8602FF FF800000
	v_mov_b32_e32 v136, 0xff800000                             // 0000000021EC: 7F1002FF FF800000
	v_mov_b64_e32 v[140:141], 0                                // 0000000021F4: 7F187080
	v_mov_b64_e32 v[144:145], 0                                // 0000000021F8: 7F207080
	v_mov_b64_e32 v[132:133], 0                                // 0000000021FC: 7F087080
	v_mov_b32_e32 v137, 0xff800000                             // 000000002200: 7F1202FF FF800000
	v_mov_b64_e32 v[142:143], 0                                // 000000002208: 7F1C7080
	v_mov_b64_e32 v[146:147], 0                                // 00000000220C: 7F247080
	v_mov_b64_e32 v[134:135], 0                                // 000000002210: 7F0C7080
	s_waitcnt lgkmcnt(0)                                       // 000000002214: BF8CC07F
	s_mov_b32 s68, s51                                         // 000000002218: BEC40033
	s_mov_b32 s69, s51                                         // 00000000221C: BEC50033
	s_lshl_b32 s40, s48, 2                                     // 000000002220: 8E288230
	s_and_b32 s25, s25, 0xffff                                 // 000000002224: 8619FF19 0000FFFF
	s_add_u32 s24, s24, s40                                    // 00000000222C: 80182818
	s_addc_u32 s25, s25, 0                                     // 000000002230: 82198019
	s_load_dword s59, s[24:25], 0x0                            // 000000002234: C0020ECC 00000000
	s_mul_i32 s40, s48, s52                                    // 00000000223C: 92283430
	s_lshl_b32 s40, s40, 2                                     // 000000002240: 8E288228
	s_and_b32 s21, s21, 0xffff                                 // 000000002244: 8615FF15 0000FFFF
	s_add_u32 s20, s20, s40                                    // 00000000224C: 80142814
	s_addc_u32 s21, s21, 0                                     // 000000002250: 82158015
	s_load_dword s61, s[20:21], 0x0                            // 000000002254: C0020F4A 00000000
	s_mov_b32 s10, 0x80000000                                  // 00000000225C: BE8A00FF 80000000
	s_mov_b32 s11, 0x20000                                     // 000000002264: BE8B00FF 00020000
	s_and_b32 s9, s9, 0xffff                                   // 00000000226C: 8609FF09 0000FFFF
	s_or_b32 s9, s9, 0                                         // 000000002274: 87098009
	s_mov_b32 s6, 0x80000000                                   // 000000002278: BE8600FF 80000000
	s_mov_b32 s7, 0x20000                                      // 000000002280: BE8700FF 00020000
	s_and_b32 s5, s5, 0xffff                                   // 000000002288: 8605FF05 0000FFFF
	s_or_b32 s5, s5, 0                                         // 000000002290: 87058005
	s_mul_i32 s55, s54, 2                                      // 000000002294: 92378236
	s_mul_i32 s40, s48, s55                                    // 000000002298: 92283730
	s_mul_i32 s41, s47, 0xa00                                  // 00000000229C: 9229FF2F 00000A00
	s_add_u32 s40, s40, s41                                    // 0000000022A4: 80282928
	s_add_u32 s41, s54, 0xa00                                  // 0000000022A8: 8029FF36 00000A00
	s_add_u32 s8, s8, s40                                      // 0000000022B0: 80082808
	s_addc_u32 s9, s9, 0                                       // 0000000022B4: 82098009
	s_mov_b32 s10, s41                                         // 0000000022B8: BE8A0029
	s_mul_i32 s67, s53, 0xa00                                  // 0000000022BC: 9243FF35 00000A00
	s_mul_i32 s40, 2, s67                                      // 0000000022C4: 92284382
	s_mul_i32 s40, s40, s48                                    // 0000000022C8: 92283028
	s_mul_i32 s41, s47, 0xa00                                  // 0000000022CC: 9229FF2F 00000A00
	s_add_u32 s40, s40, s41                                    // 0000000022D4: 80282928
	s_add_u32 s41, s67, 0xa00                                  // 0000000022D8: 8029FF43 00000A00
	s_add_u32 s4, s4, s40                                      // 0000000022E0: 80042804
	s_addc_u32 s5, s5, 0                                       // 0000000022E4: 82058005
	s_mov_b32 s6, s41                                          // 0000000022E8: BE860029
	v_and_b32_e32 v187, 15, v0                                 // 0000000022EC: 2776008F
	v_lshlrev_b32_e32 v187, 4, v187                            // 0000000022F0: 25777684
	s_lshl_b32 s40, s46, 2                                     // 0000000022F4: 8E28822E
	v_lshrrev_b32_e32 v184, 4, v0                              // 0000000022F8: 21700084
	v_add_u32_e32 v184, s40, v184                              // 0000000022FC: 69717028
	v_add_u32_e32 v185, 16, v184                               // 000000002300: 69737090
	v_mul_u32_u24_e32 v152, 13, v184                           // 000000002304: 1131708D
	v_lshrrev_b32_e32 v152, 7, v152                            // 000000002308: 21313087
	v_mul_u32_u24_e32 v186, 10, v152                           // 00000000230C: 1175308A
	v_sub_u32_e32 v186, v184, v186                             // 000000002310: 6B7575B8
	v_mul_u32_u24_e32 v186, 0x100, v186                        // 000000002314: 117574FF 00000100
	v_mul_u32_u24_e32 v196, s54, v152                          // 00000000231C: 11893036
	v_add3_u32 v196, v186, v196, v187                          // 000000002320: D1FF00C4 06EF89BA
	v_mul_u32_u24_e32 v198, s67, v152                          // 000000002328: 118D3043
	v_add3_u32 v198, v186, v198, v187                          // 00000000232C: D1FF00C6 06EF8DBA
	v_mul_u32_u24_e32 v152, 13, v185                           // 000000002334: 1131728D
	v_lshrrev_b32_e32 v152, 7, v152                            // 000000002338: 21313087
	v_mul_u32_u24_e32 v186, 10, v152                           // 00000000233C: 1175308A
	v_sub_u32_e32 v186, v185, v186                             // 000000002340: 6B7575B9
	v_mul_u32_u24_e32 v186, 0x100, v186                        // 000000002344: 117574FF 00000100
	v_mul_u32_u24_e32 v197, s54, v152                          // 00000000234C: 118B3036
	v_add3_u32 v197, v186, v197, v187                          // 000000002350: D1FF00C5 06EF8BBA
	v_mul_u32_u24_e32 v199, s67, v152                          // 000000002358: 118F3043
	v_add3_u32 v199, v186, v199, v187                          // 00000000235C: D1FF00C7 06EF8FBA
	s_lshl_b32 s40, s46, 5                                     // 000000002364: 8E28852E
	v_and_b32_e32 v184, 15, v0                                 // 000000002368: 2770008F
	v_mul_i32_i24_e32 v184, 0x90, v184                         // 00000000236C: 0D7170FF 00000090
	v_lshrrev_b32_e32 v185, 4, v0                              // 000000002374: 21720084
	v_lshlrev_b32_e32 v185, 3, v185                            // 000000002378: 25737283
	v_add3_u32 v208, v184, v185, s40                           // 00000000237C: D1FF00D0 00A373B8
	v_and_b32_e32 v209, 15, v0                                 // 000000002384: 27A2008F
	v_lshlrev_b32_e32 v209, 3, v209                            // 000000002388: 25A3A283
	s_mul_i32 s40, s46, 0x240                                  // 00000000238C: 9228FF2E 00000240
	v_lshrrev_b32_e32 v184, 4, v0                              // 000000002394: 21700084
	v_lshlrev_b32_e32 v184, 7, v184                            // 000000002398: 25717087
	v_lshrrev_b32_e32 v185, 5, v0                              // 00000000239C: 21720085
	v_lshlrev_b32_e32 v185, 5, v185                            // 0000000023A0: 25737285
	v_and_b32_e32 v186, 15, v0                                 // 0000000023A4: 2774008F
	v_lshlrev_b32_e32 v186, 3, v186                            // 0000000023A8: 25757483
	v_add3_u32 v184, v184, v185, v186                          // 0000000023AC: D1FF00B8 06EB73B8
	v_add_u32_e32 v210, s40, v184                              // 0000000023B4: 69A57028
	v_and_b32_e32 v184, 15, v0                                 // 0000000023B8: 2770008F
	v_lshlrev_b32_e32 v185, 7, v184                            // 0000000023BC: 25737087
	v_lshrrev_b32_e32 v184, 1, v184                            // 0000000023C0: 21717081
	v_lshlrev_b32_e32 v184, 5, v184                            // 0000000023C4: 25717085
	v_lshrrev_b32_e32 v186, 4, v0                              // 0000000023C8: 21740084
	v_lshlrev_b32_e32 v186, 4, v186                            // 0000000023CC: 25757484
	v_add3_u32 v211, v184, v185, v186                          // 0000000023D0: D1FF00D3 06EB73B8
	s_mul_i32 s40, s46, 0x240                                  // 0000000023D8: 9228FF2E 00000240
	v_lshrrev_b32_e32 v184, 5, v0                              // 0000000023E0: 21700085
	v_mul_i32_i24_e32 v184, 0x120, v184                        // 0000000023E4: 0D7170FF 00000120
	v_lshrrev_b32_e32 v185, 4, v0                              // 0000000023EC: 21720084
	v_and_b32_e32 v185, 1, v185                                // 0000000023F0: 27737281
	v_lshlrev_b32_e32 v185, 3, v185                            // 0000000023F4: 25737283
	v_and_b32_e32 v186, 15, v0                                 // 0000000023F8: 2774008F
	v_lshlrev_b32_e32 v186, 4, v186                            // 0000000023FC: 25757484
	v_add3_u32 v212, v184, v185, v186                          // 000000002400: D1FF00D4 06EB73B8
	v_add_u32_e32 v212, s40, v212                              // 000000002408: 69A9A828
	s_lshl_b32 s40, s46, 6                                     // 00000000240C: 8E28862E
	v_lshrrev_b32_e32 v184, 4, v0                              // 000000002410: 21700084
	v_lshlrev_b32_e32 v184, 4, v184                            // 000000002414: 25717084
	v_and_b32_e32 v185, 15, v0                                 // 000000002418: 2772008F
	v_mul_i32_i24_e32 v185, 0x120, v185                        // 00000000241C: 0D7372FF 00000120
	v_add3_u32 v213, v184, v185, s40                           // 000000002424: D1FF00D5 00A373B8
	buffer_load_dwordx4 v[4:7], v196, s[8:11], 0 offen         // 00000000242C: E05C1000 800204C4
	buffer_load_dwordx4 v[8:11], v197, s[8:11], 0 offen        // 000000002434: E05C1000 800208C5
	s_mov_b32 s14, 0x80000000                                  // 00000000243C: BE8E00FF 80000000
	s_mov_b32 s15, 0x20000                                     // 000000002444: BE8F00FF 00020000
	s_and_b32 s13, s13, 0xffff                                 // 00000000244C: 860DFF0D 0000FFFF
	s_or_b32 s13, s13, 0                                       // 000000002454: 870D800D
	s_mul_i32 s40, s47, s57                                    // 000000002458: 9228392F
	s_mul_i32 s41, s46, 0x100                                  // 00000000245C: 9229FF2E 00000100
	s_add_u32 s41, s40, s41                                    // 000000002464: 80292928
	s_add_u32 s84, s12, s41                                    // 000000002468: 8054290C
	s_addc_u32 s85, s13, 0                                     // 00000000246C: 8255800D
	s_mov_b32 s18, 0x80000000                                  // 000000002470: BE9200FF 80000000
	s_mov_b32 s19, 0x20000                                     // 000000002478: BE9300FF 00020000
	s_and_b32 s17, s17, 0xffff                                 // 000000002480: 8611FF11 0000FFFF
	s_or_b32 s17, s17, 0                                       // 000000002488: 87118011
	s_add_u32 s86, s16, s41                                    // 00000000248C: 80562910
	s_addc_u32 s87, s17, 0                                     // 000000002490: 82578011
	s_mov_b32 s30, 0x80000000                                  // 000000002494: BE9E00FF 80000000
	s_mov_b32 s31, 0x20000                                     // 00000000249C: BE9F00FF 00020000
	s_and_b32 s29, s29, 0xffff                                 // 0000000024A4: 861DFF1D 0000FFFF
	s_or_b32 s29, s29, 0                                       // 0000000024AC: 871D801D
	s_mul_i32 s40, s47, 0x1000                                 // 0000000024B0: 9228FF2F 00001000
	s_mul_i32 s41, s46, 64                                     // 0000000024B8: 9229C02E
	s_add_u32 s41, s40, s41                                    // 0000000024BC: 80292928
	s_add_u32 s88, s28, s41                                    // 0000000024C0: 8058291C
	s_addc_u32 s89, s29, 0                                     // 0000000024C4: 8259801D
	s_mov_b32 s34, 0x80000000                                  // 0000000024C8: BEA200FF 80000000
	s_mov_b32 s35, 0x20000                                     // 0000000024D0: BEA300FF 00020000
	s_and_b32 s33, s33, 0xffff                                 // 0000000024D8: 8621FF21 0000FFFF
	s_or_b32 s33, s33, 0                                       // 0000000024E0: 87218021
	s_add_u32 s90, s32, s41                                    // 0000000024E4: 805A2920
	s_addc_u32 s91, s33, 0                                     // 0000000024E8: 825B8021
	v_lshrrev_b32_e32 v184, 4, v0                              // 0000000024EC: 21700084
	v_and_b32_e32 v185, 15, v0                                 // 0000000024F0: 2772008F
	v_lshlrev_b32_e32 v186, 4, v185                            // 0000000024F4: 25757284
	v_mul_i32_i24_e32 v200, 0x4000, v184                       // 0000000024F8: 0D9170FF 00004000
	v_add_u32_e32 v200, v186, v200                             // 000000002500: 699191BA
	v_add_u32_e32 v201, 0x10000, v200                          // 000000002504: 699390FF 00010000
	v_mul_i32_i24_e32 v202, 0x800, v184                        // 00000000250C: 0D9570FF 00000800
	v_add_u32_e32 v202, v186, v202                             // 000000002514: 699595BA
	v_add_u32_e32 v203, 0x2000, v202                           // 000000002518: 699794FF 00002000
	v_add_u32_e32 v204, 0x2000, v203                           // 000000002520: 699996FF 00002000
	v_add_u32_e32 v205, 0x2000, v204                           // 000000002528: 699B98FF 00002000
	v_lshlrev_b32_e32 v184, 2, v184                            // 000000002530: 25717082
	v_lshrrev_b32_e32 v185, 2, v185                            // 000000002534: 21737282
	v_lshlrev_b32_e32 v185, 6, v185                            // 000000002538: 25737286
	v_and_b32_e32 v186, 3, v0                                  // 00000000253C: 27740083
	v_add3_u32 v184, v184, v185, v186                          // 000000002540: D1FF00B8 06EB73B8
	v_lshlrev_b32_e32 v206, 2, v184                            // 000000002548: 259D7082
	v_mov_b32_e32 v207, v206                                   // 00000000254C: 7F9E03CE
	s_waitcnt lgkmcnt(0)                                       // 000000002550: BF8CC07F
	s_mul_i32 s64, s61, s56                                    // 000000002554: 9240383D
	s_mov_b32 s65, s64                                         // 000000002558: BEC10040
	s_mul_i32 s58, 0x1000, s53                                 // 00000000255C: 923A35FF 00001000
	s_mul_i32 s66, s61, s58                                    // 000000002564: 92423A3D
	s_add_u32 s12, s84, s64                                    // 000000002568: 800C4054
	s_addc_u32 s13, s85, 0                                     // 00000000256C: 820D8055
	s_add_u32 s16, s86, s65                                    // 000000002570: 80104156
	s_addc_u32 s17, s87, 0                                     // 000000002574: 82118057
	s_add_u32 s28, s88, s66                                    // 000000002578: 801C4258
	s_addc_u32 s29, s89, 0                                     // 00000000257C: 821D8059
	s_add_u32 s32, s90, s66                                    // 000000002580: 8020425A
	s_addc_u32 s33, s91, 0                                     // 000000002584: 8221805B
	s_add_u32 s64, s64, 0x1000                                 // 000000002588: 8040FF40 00001000
	s_add_u32 s65, s65, 0x8000                                 // 000000002590: 8041FF41 00008000
	s_add_u32 s66, s66, 0x400                                  // 000000002598: 8042FF42 00000400
	buffer_load_dwordx4 a[0:3], v200, s[12:15], 0 offen        // 0000000025A0: E05C1000 808300C8
	buffer_load_dwordx4 a[4:7], v201, s[12:15], 0 offen        // 0000000025A8: E05C1000 808304C9
	buffer_load_dwordx4 a[8:11], v200, s[12:15], 0 offen offset:1024// 0000000025B0: E05C1400 808308C8
	buffer_load_dwordx4 a[12:15], v201, s[12:15], 0 offen offset:1024// 0000000025B8: E05C1400 80830CC9
	buffer_load_dwordx4 a[16:19], v200, s[12:15], 0 offen offset:2048// 0000000025C0: E05C1800 808310C8
	buffer_load_dwordx4 a[20:23], v201, s[12:15], 0 offen offset:2048// 0000000025C8: E05C1800 808314C9
	buffer_load_dwordx4 a[24:27], v200, s[12:15], 0 offen offset:3072// 0000000025D0: E05C1C00 808318C8
	buffer_load_dwordx4 a[28:31], v201, s[12:15], 0 offen offset:3072// 0000000025D8: E05C1C00 80831CC9
	buffer_load_dword v128, v206, s[28:31], 0 offen            // 0000000025E0: E0501000 800780CE
	buffer_load_dword v130, v207, s[32:35], 0 offen            // 0000000025E8: E0501000 800882CF
	buffer_load_dwordx4 a[64:67], v202, s[16:19], 0 offen      // 0000000025F0: E05C1000 808440CA
	buffer_load_dwordx4 a[68:71], v203, s[16:19], 0 offen      // 0000000025F8: E05C1000 808444CB
	buffer_load_dwordx4 a[72:75], v204, s[16:19], 0 offen      // 000000002600: E05C1000 808448CC
	buffer_load_dwordx4 a[76:79], v205, s[16:19], 0 offen      // 000000002608: E05C1000 80844CCD
	buffer_load_dwordx4 a[80:83], v202, s[16:19], 0 offen offset:1024// 000000002610: E05C1400 808450CA
	buffer_load_dwordx4 a[84:87], v203, s[16:19], 0 offen offset:1024// 000000002618: E05C1400 808454CB
	buffer_load_dwordx4 a[88:91], v204, s[16:19], 0 offen offset:1024// 000000002620: E05C1400 808458CC
	buffer_load_dwordx4 a[92:95], v205, s[16:19], 0 offen offset:1024// 000000002628: E05C1400 80845CCD
	s_lshl_b32 s40, s46, 6                                     // 000000002630: 8E28862E
	v_add_u32_e32 v214, s40, v0                                // 000000002634: 69AC0028
	v_lshlrev_b32_e32 v214, 3, v214                            // 000000002638: 25ADAC83
	v_and_b32_e32 v215, 15, v0                                 // 00000000263C: 27AE008F
	v_lshlrev_b32_e32 v215, 3, v215                            // 000000002640: 25AFAE83
	s_lshl_b32 s40, s46, 8                                     // 000000002644: 8E28882E
	v_and_b32_e32 v185, 15, v0                                 // 000000002648: 2772008F
	v_lshlrev_b32_e32 v185, 4, v185                            // 00000000264C: 25737284
	v_lshrrev_b32_e32 v186, 4, v0                              // 000000002650: 21740084
	v_lshlrev_b32_e32 v186, 2, v186                            // 000000002654: 25757482
	v_add3_u32 v216, v185, v186, s40                           // 000000002658: D1FF00D8 00A375B9
	v_and_b32_e32 v184, 15, v0                                 // 000000002660: 2770008F
	v_lshlrev_b32_e32 v184, 4, v184                            // 000000002664: 25717084
	v_lshrrev_b32_e32 v185, 4, v0                              // 000000002668: 21720084
	v_lshlrev_b32_e32 v185, 8, v185                            // 00000000266C: 25737288
	v_add_u32_e32 v217, v184, v185                             // 000000002670: 69B373B8
	s_lshl_b32 s40, s46, 4                                     // 000000002674: 8E28842E
	v_lshrrev_b32_e32 v194, 4, v0                              // 000000002678: 21840084
	v_lshlrev_b32_e32 v194, 2, v194                            // 00000000267C: 25858482
	v_add_u32_e32 v194, s40, v194                              // 000000002680: 69858428
	s_sub_i32 s40, s59, 1                                      // 000000002684: 81A8813B
	v_and_b32_e32 v184, 15, v0                                 // 000000002688: 2770008F
	v_add_u32_e32 v185, 16, v184                               // 00000000268C: 69737090
	v_mul_u32_u24_e32 v186, 13, v184                           // 000000002690: 1175708D
	v_lshrrev_b32_e32 v186, 7, v186                            // 000000002694: 21757487
	v_mul_u32_u24_e32 v187, 10, v186                           // 000000002698: 1177748A
	v_sub_u32_e32 v187, v184, v187                             // 00000000269C: 6B7777B8
	v_add_u32_e32 v192, s40, v186                              // 0000000026A0: 69817428
	v_mul_u32_u24_e32 v186, 13, v185                           // 0000000026A4: 1175728D
	v_lshrrev_b32_e32 v186, 7, v186                            // 0000000026A8: 21757487
	v_mul_u32_u24_e32 v187, 10, v186                           // 0000000026AC: 1177748A
	v_sub_u32_e32 v187, v185, v187                             // 0000000026B0: 6B7777B9
	v_add_u32_e32 v193, s40, v186                              // 0000000026B4: 69837428
	s_waitcnt vmcnt(18)                                        // 0000000026B8: BF8C4F72
	v_lshlrev_b32_e32 v12, 16, v4                              // 0000000026BC: 24180890
	v_and_b32_e32 v13, 0xffff0000, v4                          // 0000000026C0: 261A08FF FFFF0000
	v_lshlrev_b32_e32 v14, 16, v5                              // 0000000026C8: 241C0A90
	v_and_b32_e32 v15, 0xffff0000, v5                          // 0000000026CC: 261E0AFF FFFF0000
	v_lshlrev_b32_e32 v16, 16, v6                              // 0000000026D4: 24200C90
	v_and_b32_e32 v17, 0xffff0000, v6                          // 0000000026D8: 26220CFF FFFF0000
	v_lshlrev_b32_e32 v18, 16, v7                              // 0000000026E0: 24240E90
	v_and_b32_e32 v19, 0xffff0000, v7                          // 0000000026E4: 26260EFF FFFF0000
	v_lshlrev_b32_e32 v20, 16, v8                              // 0000000026EC: 24281090
	v_and_b32_e32 v21, 0xffff0000, v8                          // 0000000026F0: 262A10FF FFFF0000
	v_lshlrev_b32_e32 v22, 16, v9                              // 0000000026F8: 242C1290
	v_and_b32_e32 v23, 0xffff0000, v9                          // 0000000026FC: 262E12FF FFFF0000
	v_lshlrev_b32_e32 v24, 16, v10                             // 000000002704: 24301490
	v_and_b32_e32 v25, 0xffff0000, v10                         // 000000002708: 263214FF FFFF0000
	v_lshlrev_b32_e32 v26, 16, v11                             // 000000002710: 24341690
	v_and_b32_e32 v27, 0xffff0000, v11                         // 000000002714: 263616FF FFFF0000
	v_mov_b32_e32 v148, 0x358637bd                             // 00000000271C: 7F2802FF 358637BD
	v_max3_f32 v148, |v12|, |v13|, v148                        // 000000002724: D1D30394 06521B0C
	v_max3_f32 v148, |v14|, |v15|, v148                        // 00000000272C: D1D30394 06521F0E
	v_max3_f32 v148, |v16|, |v17|, v148                        // 000000002734: D1D30394 06522310
	v_max3_f32 v148, |v18|, |v19|, v148                        // 00000000273C: D1D30394 06522712
	v_mov_b32_e32 v149, 0x358637bd                             // 000000002744: 7F2A02FF 358637BD
	v_max3_f32 v149, |v20|, |v21|, v149                        // 00000000274C: D1D30395 06562B14
	v_max3_f32 v149, |v22|, |v23|, v149                        // 000000002754: D1D30395 06562F16
	v_max3_f32 v149, |v24|, |v25|, v149                        // 00000000275C: D1D30395 06563318
	v_max3_f32 v149, |v26|, |v27|, v149                        // 000000002764: D1D30395 0656371A
	ds_write_b64 v208, v[148:149] offset:2304                  // 00000000276C: D89A0900 000094D0
	s_waitcnt lgkmcnt(0)                                       // 000000002774: BF8CC07F
	s_barrier                                                  // 000000002778: BF8A0000
	ds_read_b64 v[152:153], v209 offset:2304                   // 00000000277C: D8EC0900 980000D1
	ds_read_b64 v[154:155], v209 offset:2448                   // 000000002784: D8EC0990 9A0000D1
	ds_read_b64 v[156:157], v209 offset:2592                   // 00000000278C: D8EC0A20 9C0000D1
	ds_read_b64 v[158:159], v209 offset:2736                   // 000000002794: D8EC0AB0 9E0000D1
	ds_read_b64 v[160:161], v209 offset:2880                   // 00000000279C: D8EC0B40 A00000D1
	ds_read_b64 v[162:163], v209 offset:3024                   // 0000000027A4: D8EC0BD0 A20000D1
	ds_read_b64 v[164:165], v209 offset:3168                   // 0000000027AC: D8EC0C60 A40000D1
	ds_read_b64 v[166:167], v209 offset:3312                   // 0000000027B4: D8EC0CF0 A60000D1
	ds_read_b64 v[168:169], v209 offset:3456                   // 0000000027BC: D8EC0D80 A80000D1
	ds_read_b64 v[170:171], v209 offset:3600                   // 0000000027C4: D8EC0E10 AA0000D1
	ds_read_b64 v[172:173], v209 offset:3744                   // 0000000027CC: D8EC0EA0 AC0000D1
	ds_read_b64 v[174:175], v209 offset:3888                   // 0000000027D4: D8EC0F30 AE0000D1
	ds_read_b64 v[176:177], v209 offset:4032                   // 0000000027DC: D8EC0FC0 B00000D1
	ds_read_b64 v[178:179], v209 offset:4176                   // 0000000027E4: D8EC1050 B20000D1
	ds_read_b64 v[180:181], v209 offset:4320                   // 0000000027EC: D8EC10E0 B40000D1
	ds_read_b64 v[182:183], v209 offset:4464                   // 0000000027F4: D8EC1170 B60000D1
	s_waitcnt lgkmcnt(0)                                       // 0000000027FC: BF8CC07F
	v_mov_b32_e32 v148, 0x358637bd                             // 000000002800: 7F2802FF 358637BD
	v_mov_b32_e32 v149, 0x358637bd                             // 000000002808: 7F2A02FF 358637BD
	v_max3_f32 v148, v152, v154, v148                          // 000000002810: D1D30094 06533598
	v_max3_f32 v149, v153, v155, v149                          // 000000002818: D1D30095 06573799
	v_max3_f32 v148, v156, v158, v148                          // 000000002820: D1D30094 06533D9C
	v_max3_f32 v149, v157, v159, v149                          // 000000002828: D1D30095 06573F9D
	v_max3_f32 v148, v160, v162, v148                          // 000000002830: D1D30094 065345A0
	v_max3_f32 v149, v161, v163, v149                          // 000000002838: D1D30095 065747A1
	v_max3_f32 v148, v164, v166, v148                          // 000000002840: D1D30094 06534DA4
	v_max3_f32 v149, v165, v167, v149                          // 000000002848: D1D30095 06574FA5
	v_max3_f32 v148, v168, v170, v148                          // 000000002850: D1D30094 065355A8
	v_max3_f32 v149, v169, v171, v149                          // 000000002858: D1D30095 065757A9
	v_max3_f32 v148, v172, v174, v148                          // 000000002860: D1D30094 06535DAC
	v_max3_f32 v149, v173, v175, v149                          // 000000002868: D1D30095 06575FAD
	v_max3_f32 v148, v176, v178, v148                          // 000000002870: D1D30094 065365B0
	v_max3_f32 v149, v177, v179, v149                          // 000000002878: D1D30095 065767B1
	v_max3_f32 v148, v180, v182, v148                          // 000000002880: D1D30094 06536DB4
	v_max3_f32 v149, v181, v183, v149                          // 000000002888: D1D30095 06576FB5
	v_rcp_f32_e32 v148, v148                                   // 000000002890: 7F284594
	v_rcp_f32_e32 v149, v149                                   // 000000002894: 7F2A4595
	v_mul_f32_e32 v148, 0x43700000, v148                       // 000000002898: 0B2928FF 43700000
	v_mul_f32_e32 v149, 0x43700000, v149                       // 0000000028A0: 0B2B2AFF 43700000
	s_lshl_b32 s40, s46, 2                                     // 0000000028A8: 8E28822E
	v_lshrrev_b32_e32 v186, 4, v0                              // 0000000028AC: 21740084
	v_add_u32_e32 v186, s40, v186                              // 0000000028B0: 69757428
	v_lshlrev_b32_e32 v186, 2, v186                            // 0000000028B4: 25757482
	ds_bpermute_b32 v184, v186, v148                           // 0000000028B8: D87E0000 B80094BA
	ds_bpermute_b32 v185, v186, v149                           // 0000000028C0: D87E0000 B90095BA
	s_waitcnt lgkmcnt(0)                                       // 0000000028C8: BF8CC07F
	v_mul_f32_e32 v12, v12, v184                               // 0000000028CC: 0A19710C
	v_mul_f32_e32 v13, v13, v184                               // 0000000028D0: 0A1B710D
	v_mul_f32_e32 v14, v14, v184                               // 0000000028D4: 0A1D710E
	v_mul_f32_e32 v15, v15, v184                               // 0000000028D8: 0A1F710F
	v_mul_f32_e32 v16, v16, v184                               // 0000000028DC: 0A217110
	v_mul_f32_e32 v17, v17, v184                               // 0000000028E0: 0A237111
	v_mul_f32_e32 v18, v18, v184                               // 0000000028E4: 0A257112
	v_mul_f32_e32 v19, v19, v184                               // 0000000028E8: 0A277113
	v_mul_f32_e32 v20, v20, v185                               // 0000000028EC: 0A297314
	v_mul_f32_e32 v21, v21, v185                               // 0000000028F0: 0A2B7315
	v_mul_f32_e32 v22, v22, v185                               // 0000000028F4: 0A2D7316
	v_mul_f32_e32 v23, v23, v185                               // 0000000028F8: 0A2F7317
	v_mul_f32_e32 v24, v24, v185                               // 0000000028FC: 0A317318
	v_mul_f32_e32 v25, v25, v185                               // 000000002900: 0A337319
	v_mul_f32_e32 v26, v26, v185                               // 000000002904: 0A35731A
	v_mul_f32_e32 v27, v27, v185                               // 000000002908: 0A37731B
	v_rcp_f32_e32 v124, v148                                   // 00000000290C: 7EF84594
	v_rcp_f32_e32 v126, v149                                   // 000000002910: 7EFC4595
	v_mov_b32_e32 v125, v124                                   // 000000002914: 7EFA037C
	v_mov_b32_e32 v127, v126                                   // 000000002918: 7EFE037E
	v_cvt_pk_fp8_f32 v12, v12, v13                             // 00000000291C: D2A2000C 00021B0C
	v_cvt_pk_fp8_f32 v12, v14, v15 op_sel:[0,0,1]              // 000000002924: D2A2400C 00021F0E
	v_cvt_pk_fp8_f32 v13, v16, v17                             // 00000000292C: D2A2000D 00022310
	v_cvt_pk_fp8_f32 v13, v18, v19 op_sel:[0,0,1]              // 000000002934: D2A2400D 00022712
	v_cvt_pk_fp8_f32 v14, v20, v21                             // 00000000293C: D2A2000E 00022B14
	v_cvt_pk_fp8_f32 v14, v22, v23 op_sel:[0,0,1]              // 000000002944: D2A2400E 00022F16
	v_cvt_pk_fp8_f32 v15, v24, v25                             // 00000000294C: D2A2000F 00023318
	v_cvt_pk_fp8_f32 v15, v26, v27 op_sel:[0,0,1]              // 000000002954: D2A2400F 0002371A
	ds_write_b64 v210, v[12:13] offset:4608                    // 00000000295C: D89A1200 00000CD2
	ds_write_b64 v210, v[14:15] offset:6912                    // 000000002964: D89A1B00 00000ED2
	s_waitcnt lgkmcnt(0)                                       // 00000000296C: BF8CC07F
	s_barrier                                                  // 000000002970: BF8A0000
	ds_read_b128 v[12:15], v211 offset:4608                    // 000000002974: D9FE1200 0C0000D3
	ds_read_b128 v[16:19], v211 offset:4672                    // 00000000297C: D9FE1240 100000D3
	ds_read_b128 v[20:23], v211 offset:6912                    // 000000002984: D9FE1B00 140000D3
	ds_read_b128 v[24:27], v211 offset:6976                    // 00000000298C: D9FE1B40 180000D3
	v_mov_b32_e32 v108, 0                                      // 000000002994: 7ED80280
	v_mov_b32_e32 v92, 0                                       // 000000002998: 7EB80280
	v_mov_b32_e32 v109, 0                                      // 00000000299C: 7EDA0280
	v_mov_b32_e32 v93, 0                                       // 0000000029A0: 7EBA0280
	v_mov_b32_e32 v110, 0                                      // 0000000029A4: 7EDC0280
	v_mov_b32_e32 v94, 0                                       // 0000000029A8: 7EBC0280
	v_mov_b32_e32 v111, 0                                      // 0000000029AC: 7EDE0280
	v_mov_b32_e32 v95, 0                                       // 0000000029B0: 7EBE0280
	v_mov_b32_e32 v112, 0                                      // 0000000029B4: 7EE00280
	v_mov_b32_e32 v96, 0                                       // 0000000029B8: 7EC00280
	v_mov_b32_e32 v113, 0                                      // 0000000029BC: 7EE20280
	v_mov_b32_e32 v97, 0                                       // 0000000029C0: 7EC20280
	v_mov_b32_e32 v114, 0                                      // 0000000029C4: 7EE40280
	v_mov_b32_e32 v98, 0                                       // 0000000029C8: 7EC40280
	v_mov_b32_e32 v115, 0                                      // 0000000029CC: 7EE60280
	v_mov_b32_e32 v99, 0                                       // 0000000029D0: 7EC60280
	v_mov_b32_e32 v116, 0                                      // 0000000029D4: 7EE80280
	v_mov_b32_e32 v100, 0                                      // 0000000029D8: 7EC80280
	v_mov_b32_e32 v117, 0                                      // 0000000029DC: 7EEA0280
	v_mov_b32_e32 v101, 0                                      // 0000000029E0: 7ECA0280
	v_mov_b32_e32 v118, 0                                      // 0000000029E4: 7EEC0280
	v_mov_b32_e32 v102, 0                                      // 0000000029E8: 7ECC0280
	v_mov_b32_e32 v119, 0                                      // 0000000029EC: 7EEE0280
	v_mov_b32_e32 v103, 0                                      // 0000000029F0: 7ECE0280
	v_mov_b32_e32 v120, 0                                      // 0000000029F4: 7EF00280
	v_mov_b32_e32 v104, 0                                      // 0000000029F8: 7ED00280
	v_mov_b32_e32 v121, 0                                      // 0000000029FC: 7EF20280
	v_mov_b32_e32 v105, 0                                      // 000000002A00: 7ED20280
	v_mov_b32_e32 v122, 0                                      // 000000002A04: 7EF40280
	v_mov_b32_e32 v106, 0                                      // 000000002A08: 7ED40280
	v_mov_b32_e32 v123, 0                                      // 000000002A0C: 7EF60280
	v_mov_b32_e32 v107, 0                                      // 000000002A10: 7ED60280
	s_sub_i32 s40, s59, 1                                      // 000000002A14: 81A8813B
	s_sub_i32 s60, s59, 0x100                                  // 000000002A18: 81BCFF3B 00000100
	s_and_b32 s50, s40, 0xffffff00                             // 000000002A20: 8632FF28 FFFFFF00
	s_mov_b32 s49, 0                                           // 000000002A28: BEB10080
	s_mov_b32 s62, 0                                           // 000000002A2C: BEBE0080
	s_waitcnt lgkmcnt(0)                                       // 000000002A30: BF8CC07F
	s_cmp_lt_i32 s46, 2                                        // 000000002A34: BF04822E
	s_cbranch_scc0 label_0F88                                  // 000000002A38: BF840D39

0000000000002a3c <label_024F>:
	s_cmp_lt_i32 s49, s50                                      // 000000002A3C: BF043231
	s_cbranch_scc0 label_1CC1                                  // 000000002A40: BF841A70
	s_waitcnt vmcnt(10)                                        // 000000002A44: BF8C0F7A
	v_mfma_f32_16x16x32_fp8_fp8 v[28:31], a[0:1], v[12:13], 0  // 000000002A48: D3F3001C 0A021900
	s_add_u32 s12, s84, s64                                    // 000000002A50: 800C4054
	s_addc_u32 s13, s85, 0                                     // 000000002A54: 820D8055
	v_mfma_f32_16x16x32_fp8_fp8 v[28:31], a[2:3], v[14:15], v[28:31]// 000000002A58: D3F3001C 0C721D02
	s_add_u32 s16, s86, s65                                    // 000000002A60: 80104156
	s_addc_u32 s17, s87, 0                                     // 000000002A64: 82118057
	v_mfma_f32_16x16x32_fp8_fp8 v[28:31], a[4:5], v[16:17], v[28:31]// 000000002A68: D3F3001C 0C722104
	buffer_load_dwordx4 a[32:35], v200, s[12:15], 0 offen      // 000000002A70: E05C1000 808320C8
	v_mfma_f32_16x16x32_fp8_fp8 v[28:31], a[6:7], v[18:19], v[28:31]// 000000002A78: D3F3001C 0C722506
	s_add_u32 s28, s88, s66                                    // 000000002A80: 801C4258
	s_addc_u32 s29, s89, 0                                     // 000000002A84: 821D8059
	v_mfma_f32_16x16x32_fp8_fp8 v[32:35], a[8:9], v[12:13], 0  // 000000002A88: D3F30020 0A021908
	s_add_u32 s32, s90, s66                                    // 000000002A90: 8020425A
	s_addc_u32 s33, s91, 0                                     // 000000002A94: 8221805B
	v_mfma_f32_16x16x32_fp8_fp8 v[32:35], a[10:11], v[14:15], v[32:35]// 000000002A98: D3F30020 0C821D0A
	s_add_u32 s64, s64, 0x1000                                 // 000000002AA0: 8040FF40 00001000
	s_add_u32 s65, s65, 0x8000                                 // 000000002AA8: 8041FF41 00008000
	v_mfma_f32_16x16x32_fp8_fp8 v[32:35], a[12:13], v[16:17], v[32:35]// 000000002AB0: D3F30020 0C82210C
	buffer_load_dwordx4 a[36:39], v201, s[12:15], 0 offen      // 000000002AB8: E05C1000 808324C9
	v_mfma_f32_16x16x32_fp8_fp8 v[32:35], a[14:15], v[18:19], v[32:35]// 000000002AC0: D3F30020 0C82250E
	s_add_u32 s66, s66, 0x400                                  // 000000002AC8: 8042FF42 00000400
	v_mfma_f32_16x16x32_fp8_fp8 v[36:39], a[16:17], v[12:13], 0// 000000002AD0: D3F30024 0A021910
	v_mfma_f32_16x16x32_fp8_fp8 v[36:39], a[18:19], v[14:15], v[36:39]// 000000002AD8: D3F30024 0C921D12
	v_mfma_f32_16x16x32_fp8_fp8 v[36:39], a[20:21], v[16:17], v[36:39]// 000000002AE0: D3F30024 0C922114
	buffer_load_dwordx4 a[40:43], v200, s[12:15], 0 offen offset:1024// 000000002AE8: E05C1400 808328C8
	v_mfma_f32_16x16x32_fp8_fp8 v[36:39], a[22:23], v[18:19], v[36:39]// 000000002AF0: D3F30024 0C922516
	v_mfma_f32_16x16x32_fp8_fp8 v[40:43], a[24:25], v[12:13], 0// 000000002AF8: D3F30028 0A021918
	v_mfma_f32_16x16x32_fp8_fp8 v[40:43], a[26:27], v[14:15], v[40:43]// 000000002B00: D3F30028 0CA21D1A
	v_mfma_f32_16x16x32_fp8_fp8 v[40:43], a[28:29], v[16:17], v[40:43]// 000000002B08: D3F30028 0CA2211C
	buffer_load_dwordx4 a[44:47], v201, s[12:15], 0 offen offset:1024// 000000002B10: E05C1400 80832CC9
	v_mfma_f32_16x16x32_fp8_fp8 v[40:43], a[30:31], v[18:19], v[40:43]// 000000002B18: D3F30028 0CA2251E
	v_mfma_f32_16x16x32_fp8_fp8 v[44:47], a[0:1], v[20:21], 0  // 000000002B20: D3F3002C 0A022900
	v_mfma_f32_16x16x32_fp8_fp8 v[44:47], a[2:3], v[22:23], v[44:47]// 000000002B28: D3F3002C 0CB22D02
	v_mfma_f32_16x16x32_fp8_fp8 v[44:47], a[4:5], v[24:25], v[44:47]// 000000002B30: D3F3002C 0CB23104
	buffer_load_dwordx4 a[48:51], v200, s[12:15], 0 offen offset:2048// 000000002B38: E05C1800 808330C8
	v_mfma_f32_16x16x32_fp8_fp8 v[44:47], a[6:7], v[26:27], v[44:47]// 000000002B40: D3F3002C 0CB23506
	v_mfma_f32_16x16x32_fp8_fp8 v[48:51], a[8:9], v[20:21], 0  // 000000002B48: D3F30030 0A022908
	v_mfma_f32_16x16x32_fp8_fp8 v[48:51], a[10:11], v[22:23], v[48:51]// 000000002B50: D3F30030 0CC22D0A
	v_mfma_f32_16x16x32_fp8_fp8 v[48:51], a[12:13], v[24:25], v[48:51]// 000000002B58: D3F30030 0CC2310C
	buffer_load_dwordx4 a[52:55], v201, s[12:15], 0 offen offset:2048// 000000002B60: E05C1800 808334C9
	v_mfma_f32_16x16x32_fp8_fp8 v[48:51], a[14:15], v[26:27], v[48:51]// 000000002B68: D3F30030 0CC2350E
	v_mfma_f32_16x16x32_fp8_fp8 v[52:55], a[16:17], v[20:21], 0// 000000002B70: D3F30034 0A022910
	v_mfma_f32_16x16x32_fp8_fp8 v[52:55], a[18:19], v[22:23], v[52:55]// 000000002B78: D3F30034 0CD22D12
	v_mfma_f32_16x16x32_fp8_fp8 v[52:55], a[20:21], v[24:25], v[52:55]// 000000002B80: D3F30034 0CD23114
	buffer_load_dwordx4 a[56:59], v200, s[12:15], 0 offen offset:3072// 000000002B88: E05C1C00 808338C8
	v_mfma_f32_16x16x32_fp8_fp8 v[52:55], a[22:23], v[26:27], v[52:55]// 000000002B90: D3F30034 0CD23516
	v_mfma_f32_16x16x32_fp8_fp8 v[56:59], a[24:25], v[20:21], 0// 000000002B98: D3F30038 0A022918
	v_mfma_f32_16x16x32_fp8_fp8 v[56:59], a[26:27], v[22:23], v[56:59]// 000000002BA0: D3F30038 0CE22D1A
	v_mfma_f32_16x16x32_fp8_fp8 v[56:59], a[28:29], v[24:25], v[56:59]// 000000002BA8: D3F30038 0CE2311C
	buffer_load_dwordx4 a[60:63], v201, s[12:15], 0 offen offset:3072// 000000002BB0: E05C1C00 80833CC9
	v_mfma_f32_16x16x32_fp8_fp8 v[56:59], a[30:31], v[26:27], v[56:59]// 000000002BB8: D3F30038 0CE2351E
	s_waitcnt vmcnt(16)                                        // 000000002BC0: BF8C4F70
	v_pk_mul_f32 v[28:29], v[124:125], v[28:29]                // 000000002BC4: D3B1401C 1802397C
	v_pk_mul_f32 v[30:31], v[124:125], v[30:31]                // 000000002BCC: D3B1401E 18023D7C
	v_mul_f32_dpp v28, v128, v28 row_newbcast:0 row_mask:0xf bank_mask:0xf// 000000002BD4: 0A3838FA FF015080
	v_mul_f32_dpp v29, v128, v29 row_newbcast:1 row_mask:0xf bank_mask:0xf// 000000002BDC: 0A3A3AFA FF015180
	v_mul_f32_dpp v30, v128, v30 row_newbcast:2 row_mask:0xf bank_mask:0xf// 000000002BE4: 0A3C3CFA FF015280
	v_mul_f32_dpp v31, v128, v31 row_newbcast:3 row_mask:0xf bank_mask:0xf// 000000002BEC: 0A3E3EFA FF015380
	v_pk_mul_f32 v[32:33], v[124:125], v[32:33]                // 000000002BF4: D3B14020 1802417C
	v_pk_mul_f32 v[34:35], v[124:125], v[34:35]                // 000000002BFC: D3B14022 1802457C
	v_mul_f32_dpp v32, v128, v32 row_newbcast:4 row_mask:0xf bank_mask:0xf// 000000002C04: 0A4040FA FF015480
	v_mul_f32_dpp v33, v128, v33 row_newbcast:5 row_mask:0xf bank_mask:0xf// 000000002C0C: 0A4242FA FF015580
	v_mul_f32_dpp v34, v128, v34 row_newbcast:6 row_mask:0xf bank_mask:0xf// 000000002C14: 0A4444FA FF015680
	v_mul_f32_dpp v35, v128, v35 row_newbcast:7 row_mask:0xf bank_mask:0xf// 000000002C1C: 0A4646FA FF015780
	v_pk_mul_f32 v[36:37], v[124:125], v[36:37]                // 000000002C24: D3B14024 1802497C
	v_pk_mul_f32 v[38:39], v[124:125], v[38:39]                // 000000002C2C: D3B14026 18024D7C
	v_mul_f32_dpp v36, v128, v36 row_newbcast:8 row_mask:0xf bank_mask:0xf// 000000002C34: 0A4848FA FF015880
	v_mul_f32_dpp v37, v128, v37 row_newbcast:9 row_mask:0xf bank_mask:0xf// 000000002C3C: 0A4A4AFA FF015980
	v_mul_f32_dpp v38, v128, v38 row_newbcast:10 row_mask:0xf bank_mask:0xf// 000000002C44: 0A4C4CFA FF015A80
	v_mul_f32_dpp v39, v128, v39 row_newbcast:11 row_mask:0xf bank_mask:0xf// 000000002C4C: 0A4E4EFA FF015B80
	v_pk_mul_f32 v[40:41], v[124:125], v[40:41]                // 000000002C54: D3B14028 1802517C
	v_pk_mul_f32 v[42:43], v[124:125], v[42:43]                // 000000002C5C: D3B1402A 1802557C
	v_mul_f32_dpp v40, v128, v40 row_newbcast:12 row_mask:0xf bank_mask:0xf// 000000002C64: 0A5050FA FF015C80
	v_mul_f32_dpp v41, v128, v41 row_newbcast:13 row_mask:0xf bank_mask:0xf// 000000002C6C: 0A5252FA FF015D80
	v_mul_f32_dpp v42, v128, v42 row_newbcast:14 row_mask:0xf bank_mask:0xf// 000000002C74: 0A5454FA FF015E80
	v_mul_f32_dpp v43, v128, v43 row_newbcast:15 row_mask:0xf bank_mask:0xf// 000000002C7C: 0A5656FA FF015F80
	v_pk_mul_f32 v[44:45], v[126:127], v[44:45]                // 000000002C84: D3B1402C 1802597E
	v_pk_mul_f32 v[46:47], v[126:127], v[46:47]                // 000000002C8C: D3B1402E 18025D7E
	v_mul_f32_dpp v44, v128, v44 row_newbcast:0 row_mask:0xf bank_mask:0xf// 000000002C94: 0A5858FA FF015080
	v_mul_f32_dpp v45, v128, v45 row_newbcast:1 row_mask:0xf bank_mask:0xf// 000000002C9C: 0A5A5AFA FF015180
	v_mul_f32_dpp v46, v128, v46 row_newbcast:2 row_mask:0xf bank_mask:0xf// 000000002CA4: 0A5C5CFA FF015280
	v_mul_f32_dpp v47, v128, v47 row_newbcast:3 row_mask:0xf bank_mask:0xf// 000000002CAC: 0A5E5EFA FF015380
	v_pk_mul_f32 v[48:49], v[126:127], v[48:49]                // 000000002CB4: D3B14030 1802617E
	v_pk_mul_f32 v[50:51], v[126:127], v[50:51]                // 000000002CBC: D3B14032 1802657E
	v_mul_f32_dpp v48, v128, v48 row_newbcast:4 row_mask:0xf bank_mask:0xf// 000000002CC4: 0A6060FA FF015480
	v_mul_f32_dpp v49, v128, v49 row_newbcast:5 row_mask:0xf bank_mask:0xf// 000000002CCC: 0A6262FA FF015580
	v_mul_f32_dpp v50, v128, v50 row_newbcast:6 row_mask:0xf bank_mask:0xf// 000000002CD4: 0A6464FA FF015680
	v_mul_f32_dpp v51, v128, v51 row_newbcast:7 row_mask:0xf bank_mask:0xf// 000000002CDC: 0A6666FA FF015780
	v_pk_mul_f32 v[52:53], v[126:127], v[52:53]                // 000000002CE4: D3B14034 1802697E
	v_pk_mul_f32 v[54:55], v[126:127], v[54:55]                // 000000002CEC: D3B14036 18026D7E
	v_mul_f32_dpp v52, v128, v52 row_newbcast:8 row_mask:0xf bank_mask:0xf// 000000002CF4: 0A6868FA FF015880
	v_mul_f32_dpp v53, v128, v53 row_newbcast:9 row_mask:0xf bank_mask:0xf// 000000002CFC: 0A6A6AFA FF015980
	v_mul_f32_dpp v54, v128, v54 row_newbcast:10 row_mask:0xf bank_mask:0xf// 000000002D04: 0A6C6CFA FF015A80
	v_mul_f32_dpp v55, v128, v55 row_newbcast:11 row_mask:0xf bank_mask:0xf// 000000002D0C: 0A6E6EFA FF015B80
	v_pk_mul_f32 v[56:57], v[126:127], v[56:57]                // 000000002D14: D3B14038 1802717E
	v_pk_mul_f32 v[58:59], v[126:127], v[58:59]                // 000000002D1C: D3B1403A 1802757E
	v_mul_f32_dpp v56, v128, v56 row_newbcast:12 row_mask:0xf bank_mask:0xf// 000000002D24: 0A7070FA FF015C80
	v_mul_f32_dpp v57, v128, v57 row_newbcast:13 row_mask:0xf bank_mask:0xf// 000000002D2C: 0A7272FA FF015D80
	v_mul_f32_dpp v58, v128, v58 row_newbcast:14 row_mask:0xf bank_mask:0xf// 000000002D34: 0A7474FA FF015E80
	v_mul_f32_dpp v59, v128, v59 row_newbcast:15 row_mask:0xf bank_mask:0xf// 000000002D3C: 0A7676FA FF015F80
	v_mov_b32_e32 v148, v28                                    // 000000002D44: 7F28031C
	v_max3_f32 v148, v28, v29, v148                            // 000000002D48: D1D30094 06523B1C
	v_max3_f32 v148, v30, v31, v148                            // 000000002D50: D1D30094 06523F1E
	v_max3_f32 v148, v32, v33, v148                            // 000000002D58: D1D30094 06524320
	v_max3_f32 v148, v34, v35, v148                            // 000000002D60: D1D30094 06524722
	v_max3_f32 v148, v36, v37, v148                            // 000000002D68: D1D30094 06524B24
	v_max3_f32 v148, v38, v39, v148                            // 000000002D70: D1D30094 06524F26
	v_max3_f32 v148, v40, v41, v148                            // 000000002D78: D1D30094 06525328
	v_max3_f32 v148, v42, v43, v148                            // 000000002D80: D1D30094 0652572A
	v_mov_b32_e32 v149, v44                                    // 000000002D88: 7F2A032C
	v_max3_f32 v149, v44, v45, v149                            // 000000002D8C: D1D30095 06565B2C
	v_max3_f32 v149, v46, v47, v149                            // 000000002D94: D1D30095 06565F2E
	v_max3_f32 v149, v48, v49, v149                            // 000000002D9C: D1D30095 06566330
	v_max3_f32 v149, v50, v51, v149                            // 000000002DA4: D1D30095 06566732
	v_max3_f32 v149, v52, v53, v149                            // 000000002DAC: D1D30095 06566B34
	v_max3_f32 v149, v54, v55, v149                            // 000000002DB4: D1D30095 06566F36
	v_max3_f32 v149, v56, v57, v149                            // 000000002DBC: D1D30095 06567338
	v_max3_f32 v149, v58, v59, v149                            // 000000002DC4: D1D30095 0656773A
	ds_write_b64 v214, v[148:149]                              // 000000002DCC: D89A0000 000094D6
	v_pk_mul_f32 v[108:109], v[140:141], v[108:109]            // 000000002DD4: D3B1406C 1802D98C
	v_pk_mul_f32 v[110:111], v[140:141], v[110:111]            // 000000002DDC: D3B1406E 1802DD8C
	v_pk_mul_f32 v[112:113], v[140:141], v[112:113]            // 000000002DE4: D3B14070 1802E18C
	v_pk_mul_f32 v[114:115], v[140:141], v[114:115]            // 000000002DEC: D3B14072 1802E58C
	v_pk_mul_f32 v[116:117], v[142:143], v[116:117]            // 000000002DF4: D3B14074 1802E98E
	v_pk_mul_f32 v[118:119], v[142:143], v[118:119]            // 000000002DFC: D3B14076 1802ED8E
	v_pk_mul_f32 v[120:121], v[142:143], v[120:121]            // 000000002E04: D3B14078 1802F18E
	v_pk_mul_f32 v[122:123], v[142:143], v[122:123]            // 000000002E0C: D3B1407A 1802F58E
	s_waitcnt lgkmcnt(0)                                       // 000000002E14: BF8CC07F
	s_barrier                                                  // 000000002E18: BF8A0000
	ds_read_b64 v[152:153], v215                               // 000000002E1C: D8EC0000 980000D7
	ds_read_b64 v[154:155], v215 offset:128                    // 000000002E24: D8EC0080 9A0000D7
	ds_read_b64 v[156:157], v215 offset:256                    // 000000002E2C: D8EC0100 9C0000D7
	ds_read_b64 v[158:159], v215 offset:384                    // 000000002E34: D8EC0180 9E0000D7
	ds_read_b64 v[160:161], v215 offset:512                    // 000000002E3C: D8EC0200 A00000D7
	ds_read_b64 v[162:163], v215 offset:640                    // 000000002E44: D8EC0280 A20000D7
	ds_read_b64 v[164:165], v215 offset:768                    // 000000002E4C: D8EC0300 A40000D7
	ds_read_b64 v[166:167], v215 offset:896                    // 000000002E54: D8EC0380 A60000D7
	ds_read_b64 v[168:169], v215 offset:1024                   // 000000002E5C: D8EC0400 A80000D7
	ds_read_b64 v[170:171], v215 offset:1152                   // 000000002E64: D8EC0480 AA0000D7
	ds_read_b64 v[172:173], v215 offset:1280                   // 000000002E6C: D8EC0500 AC0000D7
	ds_read_b64 v[174:175], v215 offset:1408                   // 000000002E74: D8EC0580 AE0000D7
	ds_read_b64 v[176:177], v215 offset:1536                   // 000000002E7C: D8EC0600 B00000D7
	ds_read_b64 v[178:179], v215 offset:1664                   // 000000002E84: D8EC0680 B20000D7
	ds_read_b64 v[180:181], v215 offset:1792                   // 000000002E8C: D8EC0700 B40000D7
	ds_read_b64 v[182:183], v215 offset:1920                   // 000000002E94: D8EC0780 B60000D7
	v_pk_mul_f32 v[92:93], v[132:133], v[92:93]                // 000000002E9C: D3B1405C 1802B984
	v_pk_mul_f32 v[94:95], v[132:133], v[94:95]                // 000000002EA4: D3B1405E 1802BD84
	v_pk_mul_f32 v[96:97], v[132:133], v[96:97]                // 000000002EAC: D3B14060 1802C184
	v_pk_mul_f32 v[98:99], v[132:133], v[98:99]                // 000000002EB4: D3B14062 1802C584
	v_pk_mul_f32 v[100:101], v[134:135], v[100:101]            // 000000002EBC: D3B14064 1802C986
	v_pk_mul_f32 v[102:103], v[134:135], v[102:103]            // 000000002EC4: D3B14066 1802CD86
	v_pk_mul_f32 v[104:105], v[134:135], v[104:105]            // 000000002ECC: D3B14068 1802D186
	v_pk_mul_f32 v[106:107], v[134:135], v[106:107]            // 000000002ED4: D3B1406A 1802D586
	s_waitcnt lgkmcnt(0)                                       // 000000002EDC: BF8CC07F
	v_max3_f32 v148, v152, v154, v148                          // 000000002EE0: D1D30094 06533598
	v_max3_f32 v149, v153, v155, v149                          // 000000002EE8: D1D30095 06573799
	v_max3_f32 v148, v156, v158, v148                          // 000000002EF0: D1D30094 06533D9C
	v_max3_f32 v149, v157, v159, v149                          // 000000002EF8: D1D30095 06573F9D
	v_max3_f32 v148, v160, v162, v148                          // 000000002F00: D1D30094 065345A0
	v_max3_f32 v149, v161, v163, v149                          // 000000002F08: D1D30095 065747A1
	v_max3_f32 v148, v164, v166, v148                          // 000000002F10: D1D30094 06534DA4
	v_max3_f32 v149, v165, v167, v149                          // 000000002F18: D1D30095 06574FA5
	v_max3_f32 v148, v168, v170, v148                          // 000000002F20: D1D30094 065355A8
	v_max3_f32 v149, v169, v171, v149                          // 000000002F28: D1D30095 065757A9
	v_max3_f32 v148, v172, v174, v148                          // 000000002F30: D1D30094 06535DAC
	v_max3_f32 v149, v173, v175, v149                          // 000000002F38: D1D30095 06575FAD
	v_max3_f32 v148, v176, v178, v148                          // 000000002F40: D1D30094 065365B0
	v_max3_f32 v149, v177, v179, v149                          // 000000002F48: D1D30095 065767B1
	v_max3_f32 v148, v180, v182, v148                          // 000000002F50: D1D30094 06536DB4
	v_max3_f32 v149, v181, v183, v149                          // 000000002F58: D1D30095 06576FB5
	v_max_f32_e32 v138, v148, v136                             // 000000002F60: 17151194
	v_mul_f32_e64 v184, -s51, v138                             // 000000002F64: D10500B8 20031433
	v_mov_b32_e32 v185, v184                                   // 000000002F6C: 7F7203B8
	v_pk_fma_f32 v[28:29], v[28:29], s[68:69], v[184:185]      // 000000002F70: D3B0401C 1EE0891C
	v_pk_fma_f32 v[30:31], v[30:31], s[68:69], v[184:185]      // 000000002F78: D3B0401E 1EE0891E
	v_exp_f32_e32 v28, v28                                     // 000000002F80: 7E38411C
	v_exp_f32_e32 v29, v29                                     // 000000002F84: 7E3A411D
	v_exp_f32_e32 v30, v30                                     // 000000002F88: 7E3C411E
	v_exp_f32_e32 v31, v31                                     // 000000002F8C: 7E3E411F
	v_pk_fma_f32 v[32:33], v[32:33], s[68:69], v[184:185]      // 000000002F90: D3B04020 1EE08920
	v_pk_fma_f32 v[34:35], v[34:35], s[68:69], v[184:185]      // 000000002F98: D3B04022 1EE08922
	v_exp_f32_e32 v32, v32                                     // 000000002FA0: 7E404120
	v_exp_f32_e32 v33, v33                                     // 000000002FA4: 7E424121
	v_exp_f32_e32 v34, v34                                     // 000000002FA8: 7E444122
	v_exp_f32_e32 v35, v35                                     // 000000002FAC: 7E464123
	v_pk_fma_f32 v[36:37], v[36:37], s[68:69], v[184:185]      // 000000002FB0: D3B04024 1EE08924
	v_pk_fma_f32 v[38:39], v[38:39], s[68:69], v[184:185]      // 000000002FB8: D3B04026 1EE08926
	v_exp_f32_e32 v36, v36                                     // 000000002FC0: 7E484124
	v_exp_f32_e32 v37, v37                                     // 000000002FC4: 7E4A4125
	v_exp_f32_e32 v38, v38                                     // 000000002FC8: 7E4C4126
	v_exp_f32_e32 v39, v39                                     // 000000002FCC: 7E4E4127
	v_pk_fma_f32 v[40:41], v[40:41], s[68:69], v[184:185]      // 000000002FD0: D3B04028 1EE08928
	v_pk_fma_f32 v[42:43], v[42:43], s[68:69], v[184:185]      // 000000002FD8: D3B0402A 1EE0892A
	v_exp_f32_e32 v40, v40                                     // 000000002FE0: 7E504128
	v_exp_f32_e32 v41, v41                                     // 000000002FE4: 7E524129
	v_exp_f32_e32 v42, v42                                     // 000000002FE8: 7E54412A
	v_exp_f32_e32 v43, v43                                     // 000000002FEC: 7E56412B
	v_max_f32_e32 v139, v149, v137                             // 000000002FF0: 17171395
	v_mul_f32_e64 v184, -s51, v139                             // 000000002FF4: D10500B8 20031633
	v_mov_b32_e32 v185, v184                                   // 000000002FFC: 7F7203B8
	v_pk_fma_f32 v[44:45], v[44:45], s[68:69], v[184:185]      // 000000003000: D3B0402C 1EE0892C
	v_pk_fma_f32 v[46:47], v[46:47], s[68:69], v[184:185]      // 000000003008: D3B0402E 1EE0892E
	v_exp_f32_e32 v44, v44                                     // 000000003010: 7E58412C
	v_exp_f32_e32 v45, v45                                     // 000000003014: 7E5A412D
	v_exp_f32_e32 v46, v46                                     // 000000003018: 7E5C412E
	v_exp_f32_e32 v47, v47                                     // 00000000301C: 7E5E412F
	v_pk_fma_f32 v[48:49], v[48:49], s[68:69], v[184:185]      // 000000003020: D3B04030 1EE08930
	v_pk_fma_f32 v[50:51], v[50:51], s[68:69], v[184:185]      // 000000003028: D3B04032 1EE08932
	v_exp_f32_e32 v48, v48                                     // 000000003030: 7E604130
	v_exp_f32_e32 v49, v49                                     // 000000003034: 7E624131
	v_exp_f32_e32 v50, v50                                     // 000000003038: 7E644132
	v_exp_f32_e32 v51, v51                                     // 00000000303C: 7E664133
	v_pk_fma_f32 v[52:53], v[52:53], s[68:69], v[184:185]      // 000000003040: D3B04034 1EE08934
	v_pk_fma_f32 v[54:55], v[54:55], s[68:69], v[184:185]      // 000000003048: D3B04036 1EE08936
	v_exp_f32_e32 v52, v52                                     // 000000003050: 7E684134
	v_exp_f32_e32 v53, v53                                     // 000000003054: 7E6A4135
	v_exp_f32_e32 v54, v54                                     // 000000003058: 7E6C4136
	v_exp_f32_e32 v55, v55                                     // 00000000305C: 7E6E4137
	v_pk_fma_f32 v[56:57], v[56:57], s[68:69], v[184:185]      // 000000003060: D3B04038 1EE08938
	v_pk_fma_f32 v[58:59], v[58:59], s[68:69], v[184:185]      // 000000003068: D3B0403A 1EE0893A
	v_exp_f32_e32 v56, v56                                     // 000000003070: 7E704138
	v_exp_f32_e32 v57, v57                                     // 000000003074: 7E724139
	v_exp_f32_e32 v58, v58                                     // 000000003078: 7E74413A
	v_exp_f32_e32 v59, v59                                     // 00000000307C: 7E76413B
	v_mul_f32_dpp v60, v130, v28 row_newbcast:0 row_mask:0xf bank_mask:0xf// 000000003080: 0A7838FA FF015082
	v_mul_f32_dpp v61, v130, v29 row_newbcast:1 row_mask:0xf bank_mask:0xf// 000000003088: 0A7A3AFA FF015182
	v_mul_f32_dpp v62, v130, v30 row_newbcast:2 row_mask:0xf bank_mask:0xf// 000000003090: 0A7C3CFA FF015282
	v_mul_f32_dpp v63, v130, v31 row_newbcast:3 row_mask:0xf bank_mask:0xf// 000000003098: 0A7E3EFA FF015382
	v_mul_f32_dpp v64, v130, v32 row_newbcast:4 row_mask:0xf bank_mask:0xf// 0000000030A0: 0A8040FA FF015482
	v_mul_f32_dpp v65, v130, v33 row_newbcast:5 row_mask:0xf bank_mask:0xf// 0000000030A8: 0A8242FA FF015582
	v_mul_f32_dpp v66, v130, v34 row_newbcast:6 row_mask:0xf bank_mask:0xf// 0000000030B0: 0A8444FA FF015682
	v_mul_f32_dpp v67, v130, v35 row_newbcast:7 row_mask:0xf bank_mask:0xf// 0000000030B8: 0A8646FA FF015782
	v_mul_f32_dpp v68, v130, v36 row_newbcast:8 row_mask:0xf bank_mask:0xf// 0000000030C0: 0A8848FA FF015882
	v_mul_f32_dpp v69, v130, v37 row_newbcast:9 row_mask:0xf bank_mask:0xf// 0000000030C8: 0A8A4AFA FF015982
	v_mul_f32_dpp v70, v130, v38 row_newbcast:10 row_mask:0xf bank_mask:0xf// 0000000030D0: 0A8C4CFA FF015A82
	v_mul_f32_dpp v71, v130, v39 row_newbcast:11 row_mask:0xf bank_mask:0xf// 0000000030D8: 0A8E4EFA FF015B82
	v_mul_f32_dpp v72, v130, v40 row_newbcast:12 row_mask:0xf bank_mask:0xf// 0000000030E0: 0A9050FA FF015C82
	v_mul_f32_dpp v73, v130, v41 row_newbcast:13 row_mask:0xf bank_mask:0xf// 0000000030E8: 0A9252FA FF015D82
	v_mul_f32_dpp v74, v130, v42 row_newbcast:14 row_mask:0xf bank_mask:0xf// 0000000030F0: 0A9454FA FF015E82
	v_mul_f32_dpp v75, v130, v43 row_newbcast:15 row_mask:0xf bank_mask:0xf// 0000000030F8: 0A9656FA FF015F82
	v_mul_f32_dpp v76, v130, v44 row_newbcast:0 row_mask:0xf bank_mask:0xf// 000000003100: 0A9858FA FF015082
	v_mul_f32_dpp v77, v130, v45 row_newbcast:1 row_mask:0xf bank_mask:0xf// 000000003108: 0A9A5AFA FF015182
	v_mul_f32_dpp v78, v130, v46 row_newbcast:2 row_mask:0xf bank_mask:0xf// 000000003110: 0A9C5CFA FF015282
	v_mul_f32_dpp v79, v130, v47 row_newbcast:3 row_mask:0xf bank_mask:0xf// 000000003118: 0A9E5EFA FF015382
	v_mul_f32_dpp v80, v130, v48 row_newbcast:4 row_mask:0xf bank_mask:0xf// 000000003120: 0AA060FA FF015482
	v_mul_f32_dpp v81, v130, v49 row_newbcast:5 row_mask:0xf bank_mask:0xf// 000000003128: 0AA262FA FF015582
	v_mul_f32_dpp v82, v130, v50 row_newbcast:6 row_mask:0xf bank_mask:0xf// 000000003130: 0AA464FA FF015682
	v_mul_f32_dpp v83, v130, v51 row_newbcast:7 row_mask:0xf bank_mask:0xf// 000000003138: 0AA666FA FF015782
	v_mul_f32_dpp v84, v130, v52 row_newbcast:8 row_mask:0xf bank_mask:0xf// 000000003140: 0AA868FA FF015882
	v_mul_f32_dpp v85, v130, v53 row_newbcast:9 row_mask:0xf bank_mask:0xf// 000000003148: 0AAA6AFA FF015982
	v_mul_f32_dpp v86, v130, v54 row_newbcast:10 row_mask:0xf bank_mask:0xf// 000000003150: 0AAC6CFA FF015A82
	v_mul_f32_dpp v87, v130, v55 row_newbcast:11 row_mask:0xf bank_mask:0xf// 000000003158: 0AAE6EFA FF015B82
	v_mul_f32_dpp v88, v130, v56 row_newbcast:12 row_mask:0xf bank_mask:0xf// 000000003160: 0AB070FA FF015C82
	v_mul_f32_dpp v89, v130, v57 row_newbcast:13 row_mask:0xf bank_mask:0xf// 000000003168: 0AB272FA FF015D82
	v_mul_f32_dpp v90, v130, v58 row_newbcast:14 row_mask:0xf bank_mask:0xf// 000000003170: 0AB474FA FF015E82
	v_mul_f32_dpp v91, v130, v59 row_newbcast:15 row_mask:0xf bank_mask:0xf// 000000003178: 0AB676FA FF015F82
	v_mov_b32_e32 v148, 0x358637bd                             // 000000003180: 7F2802FF 358637BD
	v_max3_f32 v148, |v60|, |v61|, v148                        // 000000003188: D1D30394 06527B3C
	v_max3_f32 v148, |v62|, |v63|, v148                        // 000000003190: D1D30394 06527F3E
	v_max3_f32 v148, |v64|, |v65|, v148                        // 000000003198: D1D30394 06528340
	v_max3_f32 v148, |v66|, |v67|, v148                        // 0000000031A0: D1D30394 06528742
	v_max3_f32 v148, |v68|, |v69|, v148                        // 0000000031A8: D1D30394 06528B44
	v_max3_f32 v148, |v70|, |v71|, v148                        // 0000000031B0: D1D30394 06528F46
	v_max3_f32 v148, |v72|, |v73|, v148                        // 0000000031B8: D1D30394 06529348
	v_max3_f32 v148, |v74|, |v75|, v148                        // 0000000031C0: D1D30394 0652974A
	v_mov_b32_e32 v149, 0x358637bd                             // 0000000031C8: 7F2A02FF 358637BD
	v_max3_f32 v149, |v76|, |v77|, v149                        // 0000000031D0: D1D30395 06569B4C
	v_max3_f32 v149, |v78|, |v79|, v149                        // 0000000031D8: D1D30395 06569F4E
	v_max3_f32 v149, |v80|, |v81|, v149                        // 0000000031E0: D1D30395 0656A350
	v_max3_f32 v149, |v82|, |v83|, v149                        // 0000000031E8: D1D30395 0656A752
	v_max3_f32 v149, |v84|, |v85|, v149                        // 0000000031F0: D1D30395 0656AB54
	v_max3_f32 v149, |v86|, |v87|, v149                        // 0000000031F8: D1D30395 0656AF56
	v_max3_f32 v149, |v88|, |v89|, v149                        // 000000003200: D1D30395 0656B358
	v_max3_f32 v149, |v90|, |v91|, v149                        // 000000003208: D1D30395 0656B75A
	ds_write_b64 v214, v[148:149] offset:2304                  // 000000003210: D89A0900 000094D6
	buffer_load_dword v129, v206, s[28:31], 0 offen            // 000000003218: E0501000 800781CE
	v_sub_f32_e32 v140, v136, v138                             // 000000003220: 05191588
	v_cmp_eq_u32_e64 s[92:93], v195, v136                      // 000000003224: D0CA005C 000311C3
	s_nop 0                                                    // 00000000322C: BF800000
	v_cndmask_b32_e64 v140, v140, 0, s[92:93]                  // 000000003230: D100008C 0171018C
	v_mov_b32_e32 v136, v138                                   // 000000003238: 7F10038A
	v_mul_f32_e32 v140, s51, v140                              // 00000000323C: 0B191833
	v_exp_f32_e32 v140, v140                                   // 000000003240: 7F18418C
	v_sub_f32_e32 v142, v137, v139                             // 000000003244: 051D1789
	v_cmp_eq_u32_e64 s[92:93], v195, v137                      // 000000003248: D0CA005C 000313C3
	s_nop 0                                                    // 000000003250: BF800000
	v_cndmask_b32_e64 v142, v142, 0, s[92:93]                  // 000000003254: D100008E 0171018E
	v_mov_b32_e32 v137, v139                                   // 00000000325C: 7F12038B
	v_mul_f32_e32 v142, s51, v142                              // 000000003260: 0B1D1C33
	v_exp_f32_e32 v142, v142                                   // 000000003264: 7F1C418E
	v_mov_b32_e32 v141, v140                                   // 000000003268: 7F1A038C
	v_mov_b32_e32 v143, v142                                   // 00000000326C: 7F1E038E
	buffer_load_dword v131, v207, s[32:35], 0 offen            // 000000003270: E0501000 800883CF
	s_waitcnt lgkmcnt(0)                                       // 000000003278: BF8CC07F
	s_barrier                                                  // 00000000327C: BF8A0000
	ds_read_b64 v[152:153], v215 offset:2304                   // 000000003280: D8EC0900 980000D7
	ds_read_b64 v[154:155], v215 offset:2432                   // 000000003288: D8EC0980 9A0000D7
	ds_read_b64 v[156:157], v215 offset:2560                   // 000000003290: D8EC0A00 9C0000D7
	ds_read_b64 v[158:159], v215 offset:2688                   // 000000003298: D8EC0A80 9E0000D7
	ds_read_b64 v[160:161], v215 offset:2816                   // 0000000032A0: D8EC0B00 A00000D7
	ds_read_b64 v[162:163], v215 offset:2944                   // 0000000032A8: D8EC0B80 A20000D7
	ds_read_b64 v[164:165], v215 offset:3072                   // 0000000032B0: D8EC0C00 A40000D7
	ds_read_b64 v[166:167], v215 offset:3200                   // 0000000032B8: D8EC0C80 A60000D7
	ds_read_b64 v[168:169], v215 offset:3328                   // 0000000032C0: D8EC0D00 A80000D7
	ds_read_b64 v[170:171], v215 offset:3456                   // 0000000032C8: D8EC0D80 AA0000D7
	ds_read_b64 v[172:173], v215 offset:3584                   // 0000000032D0: D8EC0E00 AC0000D7
	ds_read_b64 v[174:175], v215 offset:3712                   // 0000000032D8: D8EC0E80 AE0000D7
	ds_read_b64 v[176:177], v215 offset:3840                   // 0000000032E0: D8EC0F00 B00000D7
	ds_read_b64 v[178:179], v215 offset:3968                   // 0000000032E8: D8EC0F80 B20000D7
	ds_read_b64 v[180:181], v215 offset:4096                   // 0000000032F0: D8EC1000 B40000D7
	ds_read_b64 v[182:183], v215 offset:4224                   // 0000000032F8: D8EC1080 B60000D7
	v_mul_f32_e32 v144, v140, v144                             // 000000003300: 0B21218C
	v_add_f32_e32 v144, v28, v144                              // 000000003304: 0321211C
	v_add_f32_e32 v144, v29, v144                              // 000000003308: 0321211D
	v_add_f32_e32 v144, v30, v144                              // 00000000330C: 0321211E
	v_add_f32_e32 v144, v31, v144                              // 000000003310: 0321211F
	v_add_f32_e32 v144, v32, v144                              // 000000003314: 03212120
	v_add_f32_e32 v144, v33, v144                              // 000000003318: 03212121
	v_add_f32_e32 v144, v34, v144                              // 00000000331C: 03212122
	v_add_f32_e32 v144, v35, v144                              // 000000003320: 03212123
	v_add_f32_e32 v144, v36, v144                              // 000000003324: 03212124
	;; [unrolled: 1-line block ×3, first 2 shown]
	v_add_f32_e32 v144, v38, v144                              // 00000000332C: 03212126
	v_add_f32_e32 v144, v39, v144                              // 000000003330: 03212127
	v_add_f32_e32 v144, v40, v144                              // 000000003334: 03212128
	;; [unrolled: 1-line block ×3, first 2 shown]
	v_add_f32_e32 v144, v42, v144                              // 00000000333C: 0321212A
	v_add_f32_e32 v144, v43, v144                              // 000000003340: 0321212B
	v_mul_f32_e32 v145, v142, v145                             // 000000003344: 0B23238E
	v_add_f32_e32 v145, v44, v145                              // 000000003348: 0323232C
	v_add_f32_e32 v145, v45, v145                              // 00000000334C: 0323232D
	v_add_f32_e32 v145, v46, v145                              // 000000003350: 0323232E
	v_add_f32_e32 v145, v47, v145                              // 000000003354: 0323232F
	v_add_f32_e32 v145, v48, v145                              // 000000003358: 03232330
	v_add_f32_e32 v145, v49, v145                              // 00000000335C: 03232331
	v_add_f32_e32 v145, v50, v145                              // 000000003360: 03232332
	v_add_f32_e32 v145, v51, v145                              // 000000003364: 03232333
	v_add_f32_e32 v145, v52, v145                              // 000000003368: 03232334
	v_add_f32_e32 v145, v53, v145                              // 00000000336C: 03232335
	v_add_f32_e32 v145, v54, v145                              // 000000003370: 03232336
	v_add_f32_e32 v145, v55, v145                              // 000000003374: 03232337
	;; [unrolled: 1-line block ×3, first 2 shown]
	v_add_f32_e32 v145, v57, v145                              // 00000000337C: 03232339
	v_add_f32_e32 v145, v58, v145                              // 000000003380: 0323233A
	v_add_f32_e32 v145, v59, v145                              // 000000003384: 0323233B
	s_waitcnt lgkmcnt(0)                                       // 000000003388: BF8CC07F
	v_max3_f32 v148, v152, v154, v148                          // 00000000338C: D1D30094 06533598
	v_max3_f32 v149, v153, v155, v149                          // 000000003394: D1D30095 06573799
	v_max3_f32 v148, v156, v158, v148                          // 00000000339C: D1D30094 06533D9C
	v_max3_f32 v149, v157, v159, v149                          // 0000000033A4: D1D30095 06573F9D
	v_max3_f32 v148, v160, v162, v148                          // 0000000033AC: D1D30094 065345A0
	v_max3_f32 v149, v161, v163, v149                          // 0000000033B4: D1D30095 065747A1
	v_max3_f32 v148, v164, v166, v148                          // 0000000033BC: D1D30094 06534DA4
	v_max3_f32 v149, v165, v167, v149                          // 0000000033C4: D1D30095 06574FA5
	v_max3_f32 v148, v168, v170, v148                          // 0000000033CC: D1D30094 065355A8
	v_max3_f32 v149, v169, v171, v149                          // 0000000033D4: D1D30095 065757A9
	v_max3_f32 v148, v172, v174, v148                          // 0000000033DC: D1D30094 06535DAC
	v_max3_f32 v149, v173, v175, v149                          // 0000000033E4: D1D30095 06575FAD
	v_max3_f32 v148, v176, v178, v148                          // 0000000033EC: D1D30094 065365B0
	v_max3_f32 v149, v177, v179, v149                          // 0000000033F4: D1D30095 065767B1
	v_max3_f32 v148, v180, v182, v148                          // 0000000033FC: D1D30094 06536DB4
	v_max3_f32 v149, v181, v183, v149                          // 000000003404: D1D30095 06576FB5
	v_rcp_f32_e32 v148, v148                                   // 00000000340C: 7F284594
	v_rcp_f32_e32 v149, v149                                   // 000000003410: 7F2A4595
	v_mul_f32_e32 v148, 0x43700000, v148                       // 000000003414: 0B2928FF 43700000
	v_mul_f32_e32 v149, 0x43700000, v149                       // 00000000341C: 0B2B2AFF 43700000
	v_mov_b32_e32 v150, v149                                   // 000000003424: 7F2C0395
	v_mov_b32_e32 v151, v149                                   // 000000003428: 7F2E0395
	v_mov_b32_e32 v149, v148                                   // 00000000342C: 7F2A0394
	v_pk_mul_f32 v[28:29], v[148:149], v[60:61]                // 000000003430: D3B1401C 18027994
	v_pk_mul_f32 v[30:31], v[148:149], v[62:63]                // 000000003438: D3B1401E 18027D94
	v_pk_mul_f32 v[32:33], v[148:149], v[64:65]                // 000000003440: D3B14020 18028194
	v_pk_mul_f32 v[34:35], v[148:149], v[66:67]                // 000000003448: D3B14022 18028594
	v_pk_mul_f32 v[36:37], v[148:149], v[68:69]                // 000000003450: D3B14024 18028994
	v_pk_mul_f32 v[38:39], v[148:149], v[70:71]                // 000000003458: D3B14026 18028D94
	v_pk_mul_f32 v[40:41], v[148:149], v[72:73]                // 000000003460: D3B14028 18029194
	v_pk_mul_f32 v[42:43], v[148:149], v[74:75]                // 000000003468: D3B1402A 18029594
	v_pk_mul_f32 v[44:45], v[150:151], v[76:77]                // 000000003470: D3B1402C 18029996
	v_pk_mul_f32 v[46:47], v[150:151], v[78:79]                // 000000003478: D3B1402E 18029D96
	v_pk_mul_f32 v[48:49], v[150:151], v[80:81]                // 000000003480: D3B14030 1802A196
	v_pk_mul_f32 v[50:51], v[150:151], v[82:83]                // 000000003488: D3B14032 1802A596
	v_pk_mul_f32 v[52:53], v[150:151], v[84:85]                // 000000003490: D3B14034 1802A996
	v_pk_mul_f32 v[54:55], v[150:151], v[86:87]                // 000000003498: D3B14036 1802AD96
	v_pk_mul_f32 v[56:57], v[150:151], v[88:89]                // 0000000034A0: D3B14038 1802B196
	v_pk_mul_f32 v[58:59], v[150:151], v[90:91]                // 0000000034A8: D3B1403A 1802B596
	v_cvt_pk_fp8_f32 v28, v28, v29                             // 0000000034B0: D2A2001C 00023B1C
	v_cvt_pk_fp8_f32 v28, v30, v31 op_sel:[0,0,1]              // 0000000034B8: D2A2401C 00023F1E
	v_cvt_pk_fp8_f32 v29, v32, v33                             // 0000000034C0: D2A2001D 00024320
	v_cvt_pk_fp8_f32 v29, v34, v35 op_sel:[0,0,1]              // 0000000034C8: D2A2401D 00024722
	v_cvt_pk_fp8_f32 v30, v36, v37                             // 0000000034D0: D2A2001E 00024B24
	v_cvt_pk_fp8_f32 v30, v38, v39 op_sel:[0,0,1]              // 0000000034D8: D2A2401E 00024F26
	v_cvt_pk_fp8_f32 v31, v40, v41                             // 0000000034E0: D2A2001F 00025328
	v_cvt_pk_fp8_f32 v31, v42, v43 op_sel:[0,0,1]              // 0000000034E8: D2A2401F 0002572A
	v_cvt_pk_fp8_f32 v32, v44, v45                             // 0000000034F0: D2A20020 00025B2C
	v_cvt_pk_fp8_f32 v32, v46, v47 op_sel:[0,0,1]              // 0000000034F8: D2A24020 00025F2E
	v_cvt_pk_fp8_f32 v33, v48, v49                             // 000000003500: D2A20021 00026330
	v_cvt_pk_fp8_f32 v33, v50, v51 op_sel:[0,0,1]              // 000000003508: D2A24021 00026732
	v_cvt_pk_fp8_f32 v34, v52, v53                             // 000000003510: D2A20022 00026B34
	v_cvt_pk_fp8_f32 v34, v54, v55 op_sel:[0,0,1]              // 000000003518: D2A24022 00026F36
	v_cvt_pk_fp8_f32 v35, v56, v57                             // 000000003520: D2A20023 00027338
	v_cvt_pk_fp8_f32 v35, v58, v59 op_sel:[0,0,1]              // 000000003528: D2A24023 0002773A
	ds_write_b32 v216, v28 offset:4608                         // 000000003530: D81A1200 00001CD8
	ds_write_b32 v216, v29 offset:5632                         // 000000003538: D81A1600 00001DD8
	ds_write_b32 v216, v30 offset:6656                         // 000000003540: D81A1A00 00001ED8
	ds_write_b32 v216, v31 offset:7680                         // 000000003548: D81A1E00 00001FD8
	ds_write_b32 v216, v32 offset:8704                         // 000000003550: D81A2200 000020D8
	ds_write_b32 v216, v33 offset:9728                         // 000000003558: D81A2600 000021D8
	ds_write_b32 v216, v34 offset:10752                        // 000000003560: D81A2A00 000022D8
	ds_write_b32 v216, v35 offset:11776                        // 000000003568: D81A2E00 000023D8
	v_rcp_f32_e32 v132, v148                                   // 000000003570: 7F084594
	v_rcp_f32_e32 v134, v150                                   // 000000003574: 7F0C4596
	v_mov_b32_e32 v133, v132                                   // 000000003578: 7F0A0384
	v_mov_b32_e32 v135, v134                                   // 00000000357C: 7F0E0386
	v_pk_add_f32 v[108:109], v[108:109], v[92:93]              // 000000003580: D3B2406C 1802B96C
	v_pk_add_f32 v[110:111], v[110:111], v[94:95]              // 000000003588: D3B2406E 1802BD6E
	v_pk_add_f32 v[112:113], v[112:113], v[96:97]              // 000000003590: D3B24070 1802C170
	v_pk_add_f32 v[114:115], v[114:115], v[98:99]              // 000000003598: D3B24072 1802C572
	v_pk_add_f32 v[116:117], v[116:117], v[100:101]            // 0000000035A0: D3B24074 1802C974
	v_pk_add_f32 v[118:119], v[118:119], v[102:103]            // 0000000035A8: D3B24076 1802CD76
	v_pk_add_f32 v[120:121], v[120:121], v[104:105]            // 0000000035B0: D3B24078 1802D178
	v_pk_add_f32 v[122:123], v[122:123], v[106:107]            // 0000000035B8: D3B2407A 1802D57A
	s_waitcnt lgkmcnt(0)                                       // 0000000035C0: BF8CC07F
	s_barrier                                                  // 0000000035C4: BF8A0000
	ds_read_b128 v[28:31], v217 offset:4608                    // 0000000035C8: D9FE1200 1C0000D9
	ds_read_b128 v[32:35], v217 offset:5632                    // 0000000035D0: D9FE1600 200000D9
	ds_read_b128 v[36:39], v217 offset:6656                    // 0000000035D8: D9FE1A00 240000D9
	ds_read_b128 v[40:43], v217 offset:7680                    // 0000000035E0: D9FE1E00 280000D9
	ds_read_b128 v[44:47], v217 offset:8704                    // 0000000035E8: D9FE2200 2C0000D9
	ds_read_b128 v[48:51], v217 offset:9728                    // 0000000035F0: D9FE2600 300000D9
	ds_read_b128 v[52:55], v217 offset:10752                   // 0000000035F8: D9FE2A00 340000D9
	ds_read_b128 v[56:59], v217 offset:11776                   // 000000003600: D9FE2E00 380000D9
	s_waitcnt vmcnt(10)                                        // 000000003608: BF8C0F7A
	s_waitcnt lgkmcnt(7)                                       // 00000000360C: BF8CC77F
	v_mfma_f32_16x16x32_fp8_fp8 v[92:95], a[64:65], v[28:29], 0// 000000003610: D3F3005C 0A023940
	s_addk_i32 s62, 0x1                                        // 000000003618: B73E0001
	v_mfma_f32_16x16x32_fp8_fp8 v[96:99], a[80:81], v[28:29], 0// 00000000361C: D3F30060 0A023950
	s_cmp_lt_u32 s62, s52                                      // 000000003624: BF0A343E
	s_cselect_b32 s63, 4, 0                                    // 000000003628: 853F8084
	v_mfma_f32_16x16x32_fp8_fp8 v[92:95], a[66:67], v[30:31], v[92:95]// 00000000362C: D3F3005C 0D723D42
	buffer_load_dwordx4 a[96:99], v202, s[16:19], 0 offen      // 000000003634: E05C1000 808460CA
	v_mfma_f32_16x16x32_fp8_fp8 v[96:99], a[82:83], v[30:31], v[96:99]// 00000000363C: D3F30060 0D823D52
	s_add_u32 s20, s20, s63                                    // 000000003644: 80143F14
	s_addc_u32 s21, s21, 0                                     // 000000003648: 82158015
	s_waitcnt lgkmcnt(6)                                       // 00000000364C: BF8CC67F
	v_mfma_f32_16x16x32_fp8_fp8 v[92:95], a[68:69], v[32:33], v[92:95]// 000000003650: D3F3005C 0D724144
	v_mfma_f32_16x16x32_fp8_fp8 v[96:99], a[84:85], v[32:33], v[96:99]// 000000003658: D3F30060 0D824154
	v_mfma_f32_16x16x32_fp8_fp8 v[92:95], a[70:71], v[34:35], v[92:95]// 000000003660: D3F3005C 0D724546
	buffer_load_dwordx4 a[100:103], v203, s[16:19], 0 offen    // 000000003668: E05C1000 808464CB
	v_mfma_f32_16x16x32_fp8_fp8 v[96:99], a[86:87], v[34:35], v[96:99]// 000000003670: D3F30060 0D824556
	s_waitcnt lgkmcnt(5)                                       // 000000003678: BF8CC57F
	v_mfma_f32_16x16x32_fp8_fp8 v[92:95], a[72:73], v[36:37], v[92:95]// 00000000367C: D3F3005C 0D724948
	v_mfma_f32_16x16x32_fp8_fp8 v[96:99], a[88:89], v[36:37], v[96:99]// 000000003684: D3F30060 0D824958
	v_mfma_f32_16x16x32_fp8_fp8 v[92:95], a[74:75], v[38:39], v[92:95]// 00000000368C: D3F3005C 0D724D4A
	buffer_load_dwordx4 a[104:107], v204, s[16:19], 0 offen    // 000000003694: E05C1000 808468CC
	v_mfma_f32_16x16x32_fp8_fp8 v[96:99], a[90:91], v[38:39], v[96:99]// 00000000369C: D3F30060 0D824D5A
	s_waitcnt lgkmcnt(4)                                       // 0000000036A4: BF8CC47F
	v_mfma_f32_16x16x32_fp8_fp8 v[92:95], a[76:77], v[40:41], v[92:95]// 0000000036A8: D3F3005C 0D72514C
	v_mfma_f32_16x16x32_fp8_fp8 v[96:99], a[92:93], v[40:41], v[96:99]// 0000000036B0: D3F30060 0D82515C
	v_mfma_f32_16x16x32_fp8_fp8 v[92:95], a[78:79], v[42:43], v[92:95]// 0000000036B8: D3F3005C 0D72554E
	buffer_load_dwordx4 a[108:111], v205, s[16:19], 0 offen    // 0000000036C0: E05C1000 80846CCD
	v_mfma_f32_16x16x32_fp8_fp8 v[96:99], a[94:95], v[42:43], v[96:99]// 0000000036C8: D3F30060 0D82555E
	s_waitcnt lgkmcnt(3)                                       // 0000000036D0: BF8CC37F
	v_mfma_f32_16x16x32_fp8_fp8 v[100:103], a[64:65], v[44:45], 0// 0000000036D4: D3F30064 0A025940
	v_mfma_f32_16x16x32_fp8_fp8 v[104:107], a[80:81], v[44:45], 0// 0000000036DC: D3F30068 0A025950
	v_mfma_f32_16x16x32_fp8_fp8 v[100:103], a[66:67], v[46:47], v[100:103]// 0000000036E4: D3F30064 0D925D42
	buffer_load_dwordx4 a[112:115], v202, s[16:19], 0 offen offset:1024// 0000000036EC: E05C1400 808470CA
	v_mfma_f32_16x16x32_fp8_fp8 v[104:107], a[82:83], v[46:47], v[104:107]// 0000000036F4: D3F30068 0DA25D52
	s_waitcnt lgkmcnt(2)                                       // 0000000036FC: BF8CC27F
	v_mfma_f32_16x16x32_fp8_fp8 v[100:103], a[68:69], v[48:49], v[100:103]// 000000003700: D3F30064 0D926144
	v_mfma_f32_16x16x32_fp8_fp8 v[104:107], a[84:85], v[48:49], v[104:107]// 000000003708: D3F30068 0DA26154
	v_mfma_f32_16x16x32_fp8_fp8 v[100:103], a[70:71], v[50:51], v[100:103]// 000000003710: D3F30064 0D926546
	buffer_load_dwordx4 a[116:119], v203, s[16:19], 0 offen offset:1024// 000000003718: E05C1400 808474CB
	v_mfma_f32_16x16x32_fp8_fp8 v[104:107], a[86:87], v[50:51], v[104:107]// 000000003720: D3F30068 0DA26556
	s_waitcnt lgkmcnt(1)                                       // 000000003728: BF8CC17F
	v_mfma_f32_16x16x32_fp8_fp8 v[100:103], a[72:73], v[52:53], v[100:103]// 00000000372C: D3F30064 0D926948
	v_mfma_f32_16x16x32_fp8_fp8 v[104:107], a[88:89], v[52:53], v[104:107]// 000000003734: D3F30068 0DA26958
	v_mfma_f32_16x16x32_fp8_fp8 v[100:103], a[74:75], v[54:55], v[100:103]// 00000000373C: D3F30064 0D926D4A
	buffer_load_dwordx4 a[120:123], v204, s[16:19], 0 offen offset:1024// 000000003744: E05C1400 808478CC
	v_mfma_f32_16x16x32_fp8_fp8 v[104:107], a[90:91], v[54:55], v[104:107]// 00000000374C: D3F30068 0DA26D5A
	s_waitcnt lgkmcnt(0)                                       // 000000003754: BF8CC07F
	v_mfma_f32_16x16x32_fp8_fp8 v[100:103], a[76:77], v[56:57], v[100:103]// 000000003758: D3F30064 0D92714C
	v_mfma_f32_16x16x32_fp8_fp8 v[104:107], a[92:93], v[56:57], v[104:107]// 000000003760: D3F30068 0DA2715C
	v_mfma_f32_16x16x32_fp8_fp8 v[100:103], a[78:79], v[58:59], v[100:103]// 000000003768: D3F30064 0D92754E
	buffer_load_dwordx4 a[124:127], v205, s[16:19], 0 offen offset:1024// 000000003770: E05C1400 80847CCD
	v_mfma_f32_16x16x32_fp8_fp8 v[104:107], a[94:95], v[58:59], v[104:107]// 000000003778: D3F30068 0DA2755E
	s_load_dword s61, s[20:21], 0x0                            // 000000003780: C0020F4A 00000000
	s_addk_i32 s49, 0x100                                      // 000000003788: B7310100
	s_cmp_lt_i32 s49, s50                                      // 00000000378C: BF043231
	s_cbranch_scc0 label_20ED                                  // 000000003790: BF841B48
	s_waitcnt vmcnt(10)                                        // 000000003794: BF8C0F7A
	v_mfma_f32_16x16x32_fp8_fp8 v[28:31], a[32:33], v[12:13], 0// 000000003798: D3F3001C 0A021920
	s_add_u32 s12, s84, s64                                    // 0000000037A0: 800C4054
	s_addc_u32 s13, s85, 0                                     // 0000000037A4: 820D8055
	v_mfma_f32_16x16x32_fp8_fp8 v[28:31], a[34:35], v[14:15], v[28:31]// 0000000037A8: D3F3001C 0C721D22
	s_add_u32 s16, s86, s65                                    // 0000000037B0: 80104156
	s_addc_u32 s17, s87, 0                                     // 0000000037B4: 82118057
	v_mfma_f32_16x16x32_fp8_fp8 v[28:31], a[36:37], v[16:17], v[28:31]// 0000000037B8: D3F3001C 0C722124
	buffer_load_dwordx4 a[0:3], v200, s[12:15], 0 offen        // 0000000037C0: E05C1000 808300C8
	v_mfma_f32_16x16x32_fp8_fp8 v[28:31], a[38:39], v[18:19], v[28:31]// 0000000037C8: D3F3001C 0C722526
	s_add_u32 s28, s88, s66                                    // 0000000037D0: 801C4258
	s_addc_u32 s29, s89, 0                                     // 0000000037D4: 821D8059
	v_mfma_f32_16x16x32_fp8_fp8 v[32:35], a[40:41], v[12:13], 0// 0000000037D8: D3F30020 0A021928
	s_add_u32 s32, s90, s66                                    // 0000000037E0: 8020425A
	s_addc_u32 s33, s91, 0                                     // 0000000037E4: 8221805B
	v_mfma_f32_16x16x32_fp8_fp8 v[32:35], a[42:43], v[14:15], v[32:35]// 0000000037E8: D3F30020 0C821D2A
	s_add_u32 s64, s64, 0x1000                                 // 0000000037F0: 8040FF40 00001000
	s_add_u32 s65, s65, 0x8000                                 // 0000000037F8: 8041FF41 00008000
	v_mfma_f32_16x16x32_fp8_fp8 v[32:35], a[44:45], v[16:17], v[32:35]// 000000003800: D3F30020 0C82212C
	buffer_load_dwordx4 a[4:7], v201, s[12:15], 0 offen        // 000000003808: E05C1000 808304C9
	v_mfma_f32_16x16x32_fp8_fp8 v[32:35], a[46:47], v[18:19], v[32:35]// 000000003810: D3F30020 0C82252E
	s_add_u32 s66, s66, 0x400                                  // 000000003818: 8042FF42 00000400
	v_mfma_f32_16x16x32_fp8_fp8 v[36:39], a[48:49], v[12:13], 0// 000000003820: D3F30024 0A021930
	v_mfma_f32_16x16x32_fp8_fp8 v[36:39], a[50:51], v[14:15], v[36:39]// 000000003828: D3F30024 0C921D32
	v_mfma_f32_16x16x32_fp8_fp8 v[36:39], a[52:53], v[16:17], v[36:39]// 000000003830: D3F30024 0C922134
	buffer_load_dwordx4 a[8:11], v200, s[12:15], 0 offen offset:1024// 000000003838: E05C1400 808308C8
	v_mfma_f32_16x16x32_fp8_fp8 v[36:39], a[54:55], v[18:19], v[36:39]// 000000003840: D3F30024 0C922536
	v_mfma_f32_16x16x32_fp8_fp8 v[40:43], a[56:57], v[12:13], 0// 000000003848: D3F30028 0A021938
	v_mfma_f32_16x16x32_fp8_fp8 v[40:43], a[58:59], v[14:15], v[40:43]// 000000003850: D3F30028 0CA21D3A
	v_mfma_f32_16x16x32_fp8_fp8 v[40:43], a[60:61], v[16:17], v[40:43]// 000000003858: D3F30028 0CA2213C
	buffer_load_dwordx4 a[12:15], v201, s[12:15], 0 offen offset:1024// 000000003860: E05C1400 80830CC9
	v_mfma_f32_16x16x32_fp8_fp8 v[40:43], a[62:63], v[18:19], v[40:43]// 000000003868: D3F30028 0CA2253E
	v_mfma_f32_16x16x32_fp8_fp8 v[44:47], a[32:33], v[20:21], 0// 000000003870: D3F3002C 0A022920
	v_mfma_f32_16x16x32_fp8_fp8 v[44:47], a[34:35], v[22:23], v[44:47]// 000000003878: D3F3002C 0CB22D22
	v_mfma_f32_16x16x32_fp8_fp8 v[44:47], a[36:37], v[24:25], v[44:47]// 000000003880: D3F3002C 0CB23124
	buffer_load_dwordx4 a[16:19], v200, s[12:15], 0 offen offset:2048// 000000003888: E05C1800 808310C8
	v_mfma_f32_16x16x32_fp8_fp8 v[44:47], a[38:39], v[26:27], v[44:47]// 000000003890: D3F3002C 0CB23526
	v_mfma_f32_16x16x32_fp8_fp8 v[48:51], a[40:41], v[20:21], 0// 000000003898: D3F30030 0A022928
	v_mfma_f32_16x16x32_fp8_fp8 v[48:51], a[42:43], v[22:23], v[48:51]// 0000000038A0: D3F30030 0CC22D2A
	v_mfma_f32_16x16x32_fp8_fp8 v[48:51], a[44:45], v[24:25], v[48:51]// 0000000038A8: D3F30030 0CC2312C
	buffer_load_dwordx4 a[20:23], v201, s[12:15], 0 offen offset:2048// 0000000038B0: E05C1800 808314C9
	v_mfma_f32_16x16x32_fp8_fp8 v[48:51], a[46:47], v[26:27], v[48:51]// 0000000038B8: D3F30030 0CC2352E
	v_mfma_f32_16x16x32_fp8_fp8 v[52:55], a[48:49], v[20:21], 0// 0000000038C0: D3F30034 0A022930
	v_mfma_f32_16x16x32_fp8_fp8 v[52:55], a[50:51], v[22:23], v[52:55]// 0000000038C8: D3F30034 0CD22D32
	v_mfma_f32_16x16x32_fp8_fp8 v[52:55], a[52:53], v[24:25], v[52:55]// 0000000038D0: D3F30034 0CD23134
	buffer_load_dwordx4 a[24:27], v200, s[12:15], 0 offen offset:3072// 0000000038D8: E05C1C00 808318C8
	v_mfma_f32_16x16x32_fp8_fp8 v[52:55], a[54:55], v[26:27], v[52:55]// 0000000038E0: D3F30034 0CD23536
	v_mfma_f32_16x16x32_fp8_fp8 v[56:59], a[56:57], v[20:21], 0// 0000000038E8: D3F30038 0A022938
	v_mfma_f32_16x16x32_fp8_fp8 v[56:59], a[58:59], v[22:23], v[56:59]// 0000000038F0: D3F30038 0CE22D3A
	v_mfma_f32_16x16x32_fp8_fp8 v[56:59], a[60:61], v[24:25], v[56:59]// 0000000038F8: D3F30038 0CE2313C
	buffer_load_dwordx4 a[28:31], v201, s[12:15], 0 offen offset:3072// 000000003900: E05C1C00 80831CC9
	v_mfma_f32_16x16x32_fp8_fp8 v[56:59], a[62:63], v[26:27], v[56:59]// 000000003908: D3F30038 0CE2353E
	s_waitcnt vmcnt(16)                                        // 000000003910: BF8C4F70
	v_pk_mul_f32 v[28:29], v[124:125], v[28:29]                // 000000003914: D3B1401C 1802397C
	v_pk_mul_f32 v[30:31], v[124:125], v[30:31]                // 00000000391C: D3B1401E 18023D7C
	v_mul_f32_dpp v28, v129, v28 row_newbcast:0 row_mask:0xf bank_mask:0xf// 000000003924: 0A3838FA FF015081
	v_mul_f32_dpp v29, v129, v29 row_newbcast:1 row_mask:0xf bank_mask:0xf// 00000000392C: 0A3A3AFA FF015181
	v_mul_f32_dpp v30, v129, v30 row_newbcast:2 row_mask:0xf bank_mask:0xf// 000000003934: 0A3C3CFA FF015281
	v_mul_f32_dpp v31, v129, v31 row_newbcast:3 row_mask:0xf bank_mask:0xf// 00000000393C: 0A3E3EFA FF015381
	v_pk_mul_f32 v[32:33], v[124:125], v[32:33]                // 000000003944: D3B14020 1802417C
	v_pk_mul_f32 v[34:35], v[124:125], v[34:35]                // 00000000394C: D3B14022 1802457C
	v_mul_f32_dpp v32, v129, v32 row_newbcast:4 row_mask:0xf bank_mask:0xf// 000000003954: 0A4040FA FF015481
	v_mul_f32_dpp v33, v129, v33 row_newbcast:5 row_mask:0xf bank_mask:0xf// 00000000395C: 0A4242FA FF015581
	v_mul_f32_dpp v34, v129, v34 row_newbcast:6 row_mask:0xf bank_mask:0xf// 000000003964: 0A4444FA FF015681
	v_mul_f32_dpp v35, v129, v35 row_newbcast:7 row_mask:0xf bank_mask:0xf// 00000000396C: 0A4646FA FF015781
	v_pk_mul_f32 v[36:37], v[124:125], v[36:37]                // 000000003974: D3B14024 1802497C
	v_pk_mul_f32 v[38:39], v[124:125], v[38:39]                // 00000000397C: D3B14026 18024D7C
	v_mul_f32_dpp v36, v129, v36 row_newbcast:8 row_mask:0xf bank_mask:0xf// 000000003984: 0A4848FA FF015881
	v_mul_f32_dpp v37, v129, v37 row_newbcast:9 row_mask:0xf bank_mask:0xf// 00000000398C: 0A4A4AFA FF015981
	v_mul_f32_dpp v38, v129, v38 row_newbcast:10 row_mask:0xf bank_mask:0xf// 000000003994: 0A4C4CFA FF015A81
	v_mul_f32_dpp v39, v129, v39 row_newbcast:11 row_mask:0xf bank_mask:0xf// 00000000399C: 0A4E4EFA FF015B81
	v_pk_mul_f32 v[40:41], v[124:125], v[40:41]                // 0000000039A4: D3B14028 1802517C
	v_pk_mul_f32 v[42:43], v[124:125], v[42:43]                // 0000000039AC: D3B1402A 1802557C
	v_mul_f32_dpp v40, v129, v40 row_newbcast:12 row_mask:0xf bank_mask:0xf// 0000000039B4: 0A5050FA FF015C81
	v_mul_f32_dpp v41, v129, v41 row_newbcast:13 row_mask:0xf bank_mask:0xf// 0000000039BC: 0A5252FA FF015D81
	v_mul_f32_dpp v42, v129, v42 row_newbcast:14 row_mask:0xf bank_mask:0xf// 0000000039C4: 0A5454FA FF015E81
	v_mul_f32_dpp v43, v129, v43 row_newbcast:15 row_mask:0xf bank_mask:0xf// 0000000039CC: 0A5656FA FF015F81
	v_pk_mul_f32 v[44:45], v[126:127], v[44:45]                // 0000000039D4: D3B1402C 1802597E
	v_pk_mul_f32 v[46:47], v[126:127], v[46:47]                // 0000000039DC: D3B1402E 18025D7E
	v_mul_f32_dpp v44, v129, v44 row_newbcast:0 row_mask:0xf bank_mask:0xf// 0000000039E4: 0A5858FA FF015081
	v_mul_f32_dpp v45, v129, v45 row_newbcast:1 row_mask:0xf bank_mask:0xf// 0000000039EC: 0A5A5AFA FF015181
	v_mul_f32_dpp v46, v129, v46 row_newbcast:2 row_mask:0xf bank_mask:0xf// 0000000039F4: 0A5C5CFA FF015281
	v_mul_f32_dpp v47, v129, v47 row_newbcast:3 row_mask:0xf bank_mask:0xf// 0000000039FC: 0A5E5EFA FF015381
	v_pk_mul_f32 v[48:49], v[126:127], v[48:49]                // 000000003A04: D3B14030 1802617E
	v_pk_mul_f32 v[50:51], v[126:127], v[50:51]                // 000000003A0C: D3B14032 1802657E
	v_mul_f32_dpp v48, v129, v48 row_newbcast:4 row_mask:0xf bank_mask:0xf// 000000003A14: 0A6060FA FF015481
	v_mul_f32_dpp v49, v129, v49 row_newbcast:5 row_mask:0xf bank_mask:0xf// 000000003A1C: 0A6262FA FF015581
	v_mul_f32_dpp v50, v129, v50 row_newbcast:6 row_mask:0xf bank_mask:0xf// 000000003A24: 0A6464FA FF015681
	v_mul_f32_dpp v51, v129, v51 row_newbcast:7 row_mask:0xf bank_mask:0xf// 000000003A2C: 0A6666FA FF015781
	v_pk_mul_f32 v[52:53], v[126:127], v[52:53]                // 000000003A34: D3B14034 1802697E
	v_pk_mul_f32 v[54:55], v[126:127], v[54:55]                // 000000003A3C: D3B14036 18026D7E
	v_mul_f32_dpp v52, v129, v52 row_newbcast:8 row_mask:0xf bank_mask:0xf// 000000003A44: 0A6868FA FF015881
	v_mul_f32_dpp v53, v129, v53 row_newbcast:9 row_mask:0xf bank_mask:0xf// 000000003A4C: 0A6A6AFA FF015981
	v_mul_f32_dpp v54, v129, v54 row_newbcast:10 row_mask:0xf bank_mask:0xf// 000000003A54: 0A6C6CFA FF015A81
	v_mul_f32_dpp v55, v129, v55 row_newbcast:11 row_mask:0xf bank_mask:0xf// 000000003A5C: 0A6E6EFA FF015B81
	v_pk_mul_f32 v[56:57], v[126:127], v[56:57]                // 000000003A64: D3B14038 1802717E
	v_pk_mul_f32 v[58:59], v[126:127], v[58:59]                // 000000003A6C: D3B1403A 1802757E
	v_mul_f32_dpp v56, v129, v56 row_newbcast:12 row_mask:0xf bank_mask:0xf// 000000003A74: 0A7070FA FF015C81
	v_mul_f32_dpp v57, v129, v57 row_newbcast:13 row_mask:0xf bank_mask:0xf// 000000003A7C: 0A7272FA FF015D81
	v_mul_f32_dpp v58, v129, v58 row_newbcast:14 row_mask:0xf bank_mask:0xf// 000000003A84: 0A7474FA FF015E81
	v_mul_f32_dpp v59, v129, v59 row_newbcast:15 row_mask:0xf bank_mask:0xf// 000000003A8C: 0A7676FA FF015F81
	v_mov_b32_e32 v148, v28                                    // 000000003A94: 7F28031C
	v_max3_f32 v148, v28, v29, v148                            // 000000003A98: D1D30094 06523B1C
	v_max3_f32 v148, v30, v31, v148                            // 000000003AA0: D1D30094 06523F1E
	v_max3_f32 v148, v32, v33, v148                            // 000000003AA8: D1D30094 06524320
	v_max3_f32 v148, v34, v35, v148                            // 000000003AB0: D1D30094 06524722
	v_max3_f32 v148, v36, v37, v148                            // 000000003AB8: D1D30094 06524B24
	v_max3_f32 v148, v38, v39, v148                            // 000000003AC0: D1D30094 06524F26
	v_max3_f32 v148, v40, v41, v148                            // 000000003AC8: D1D30094 06525328
	v_max3_f32 v148, v42, v43, v148                            // 000000003AD0: D1D30094 0652572A
	v_mov_b32_e32 v149, v44                                    // 000000003AD8: 7F2A032C
	v_max3_f32 v149, v44, v45, v149                            // 000000003ADC: D1D30095 06565B2C
	v_max3_f32 v149, v46, v47, v149                            // 000000003AE4: D1D30095 06565F2E
	v_max3_f32 v149, v48, v49, v149                            // 000000003AEC: D1D30095 06566330
	v_max3_f32 v149, v50, v51, v149                            // 000000003AF4: D1D30095 06566732
	v_max3_f32 v149, v52, v53, v149                            // 000000003AFC: D1D30095 06566B34
	v_max3_f32 v149, v54, v55, v149                            // 000000003B04: D1D30095 06566F36
	v_max3_f32 v149, v56, v57, v149                            // 000000003B0C: D1D30095 06567338
	v_max3_f32 v149, v58, v59, v149                            // 000000003B14: D1D30095 0656773A
	ds_write_b64 v214, v[148:149]                              // 000000003B1C: D89A0000 000094D6
	v_pk_mul_f32 v[108:109], v[140:141], v[108:109]            // 000000003B24: D3B1406C 1802D98C
	v_pk_mul_f32 v[110:111], v[140:141], v[110:111]            // 000000003B2C: D3B1406E 1802DD8C
	v_pk_mul_f32 v[112:113], v[140:141], v[112:113]            // 000000003B34: D3B14070 1802E18C
	v_pk_mul_f32 v[114:115], v[140:141], v[114:115]            // 000000003B3C: D3B14072 1802E58C
	v_pk_mul_f32 v[116:117], v[142:143], v[116:117]            // 000000003B44: D3B14074 1802E98E
	v_pk_mul_f32 v[118:119], v[142:143], v[118:119]            // 000000003B4C: D3B14076 1802ED8E
	v_pk_mul_f32 v[120:121], v[142:143], v[120:121]            // 000000003B54: D3B14078 1802F18E
	v_pk_mul_f32 v[122:123], v[142:143], v[122:123]            // 000000003B5C: D3B1407A 1802F58E
	s_waitcnt lgkmcnt(0)                                       // 000000003B64: BF8CC07F
	s_barrier                                                  // 000000003B68: BF8A0000
	ds_read_b64 v[152:153], v215                               // 000000003B6C: D8EC0000 980000D7
	ds_read_b64 v[154:155], v215 offset:128                    // 000000003B74: D8EC0080 9A0000D7
	ds_read_b64 v[156:157], v215 offset:256                    // 000000003B7C: D8EC0100 9C0000D7
	ds_read_b64 v[158:159], v215 offset:384                    // 000000003B84: D8EC0180 9E0000D7
	ds_read_b64 v[160:161], v215 offset:512                    // 000000003B8C: D8EC0200 A00000D7
	ds_read_b64 v[162:163], v215 offset:640                    // 000000003B94: D8EC0280 A20000D7
	ds_read_b64 v[164:165], v215 offset:768                    // 000000003B9C: D8EC0300 A40000D7
	ds_read_b64 v[166:167], v215 offset:896                    // 000000003BA4: D8EC0380 A60000D7
	ds_read_b64 v[168:169], v215 offset:1024                   // 000000003BAC: D8EC0400 A80000D7
	ds_read_b64 v[170:171], v215 offset:1152                   // 000000003BB4: D8EC0480 AA0000D7
	ds_read_b64 v[172:173], v215 offset:1280                   // 000000003BBC: D8EC0500 AC0000D7
	ds_read_b64 v[174:175], v215 offset:1408                   // 000000003BC4: D8EC0580 AE0000D7
	ds_read_b64 v[176:177], v215 offset:1536                   // 000000003BCC: D8EC0600 B00000D7
	ds_read_b64 v[178:179], v215 offset:1664                   // 000000003BD4: D8EC0680 B20000D7
	ds_read_b64 v[180:181], v215 offset:1792                   // 000000003BDC: D8EC0700 B40000D7
	ds_read_b64 v[182:183], v215 offset:1920                   // 000000003BE4: D8EC0780 B60000D7
	v_pk_mul_f32 v[92:93], v[132:133], v[92:93]                // 000000003BEC: D3B1405C 1802B984
	v_pk_mul_f32 v[94:95], v[132:133], v[94:95]                // 000000003BF4: D3B1405E 1802BD84
	v_pk_mul_f32 v[96:97], v[132:133], v[96:97]                // 000000003BFC: D3B14060 1802C184
	v_pk_mul_f32 v[98:99], v[132:133], v[98:99]                // 000000003C04: D3B14062 1802C584
	v_pk_mul_f32 v[100:101], v[134:135], v[100:101]            // 000000003C0C: D3B14064 1802C986
	v_pk_mul_f32 v[102:103], v[134:135], v[102:103]            // 000000003C14: D3B14066 1802CD86
	v_pk_mul_f32 v[104:105], v[134:135], v[104:105]            // 000000003C1C: D3B14068 1802D186
	v_pk_mul_f32 v[106:107], v[134:135], v[106:107]            // 000000003C24: D3B1406A 1802D586
	s_waitcnt lgkmcnt(0)                                       // 000000003C2C: BF8CC07F
	v_max3_f32 v148, v152, v154, v148                          // 000000003C30: D1D30094 06533598
	v_max3_f32 v149, v153, v155, v149                          // 000000003C38: D1D30095 06573799
	v_max3_f32 v148, v156, v158, v148                          // 000000003C40: D1D30094 06533D9C
	v_max3_f32 v149, v157, v159, v149                          // 000000003C48: D1D30095 06573F9D
	v_max3_f32 v148, v160, v162, v148                          // 000000003C50: D1D30094 065345A0
	v_max3_f32 v149, v161, v163, v149                          // 000000003C58: D1D30095 065747A1
	v_max3_f32 v148, v164, v166, v148                          // 000000003C60: D1D30094 06534DA4
	v_max3_f32 v149, v165, v167, v149                          // 000000003C68: D1D30095 06574FA5
	v_max3_f32 v148, v168, v170, v148                          // 000000003C70: D1D30094 065355A8
	v_max3_f32 v149, v169, v171, v149                          // 000000003C78: D1D30095 065757A9
	v_max3_f32 v148, v172, v174, v148                          // 000000003C80: D1D30094 06535DAC
	v_max3_f32 v149, v173, v175, v149                          // 000000003C88: D1D30095 06575FAD
	v_max3_f32 v148, v176, v178, v148                          // 000000003C90: D1D30094 065365B0
	v_max3_f32 v149, v177, v179, v149                          // 000000003C98: D1D30095 065767B1
	v_max3_f32 v148, v180, v182, v148                          // 000000003CA0: D1D30094 06536DB4
	v_max3_f32 v149, v181, v183, v149                          // 000000003CA8: D1D30095 06576FB5
	v_max_f32_e32 v138, v148, v136                             // 000000003CB0: 17151194
	v_mul_f32_e64 v184, -s51, v138                             // 000000003CB4: D10500B8 20031433
	v_mov_b32_e32 v185, v184                                   // 000000003CBC: 7F7203B8
	v_pk_fma_f32 v[28:29], v[28:29], s[68:69], v[184:185]      // 000000003CC0: D3B0401C 1EE0891C
	v_pk_fma_f32 v[30:31], v[30:31], s[68:69], v[184:185]      // 000000003CC8: D3B0401E 1EE0891E
	v_exp_f32_e32 v28, v28                                     // 000000003CD0: 7E38411C
	v_exp_f32_e32 v29, v29                                     // 000000003CD4: 7E3A411D
	v_exp_f32_e32 v30, v30                                     // 000000003CD8: 7E3C411E
	v_exp_f32_e32 v31, v31                                     // 000000003CDC: 7E3E411F
	v_pk_fma_f32 v[32:33], v[32:33], s[68:69], v[184:185]      // 000000003CE0: D3B04020 1EE08920
	v_pk_fma_f32 v[34:35], v[34:35], s[68:69], v[184:185]      // 000000003CE8: D3B04022 1EE08922
	v_exp_f32_e32 v32, v32                                     // 000000003CF0: 7E404120
	v_exp_f32_e32 v33, v33                                     // 000000003CF4: 7E424121
	v_exp_f32_e32 v34, v34                                     // 000000003CF8: 7E444122
	v_exp_f32_e32 v35, v35                                     // 000000003CFC: 7E464123
	v_pk_fma_f32 v[36:37], v[36:37], s[68:69], v[184:185]      // 000000003D00: D3B04024 1EE08924
	v_pk_fma_f32 v[38:39], v[38:39], s[68:69], v[184:185]      // 000000003D08: D3B04026 1EE08926
	v_exp_f32_e32 v36, v36                                     // 000000003D10: 7E484124
	v_exp_f32_e32 v37, v37                                     // 000000003D14: 7E4A4125
	v_exp_f32_e32 v38, v38                                     // 000000003D18: 7E4C4126
	v_exp_f32_e32 v39, v39                                     // 000000003D1C: 7E4E4127
	v_pk_fma_f32 v[40:41], v[40:41], s[68:69], v[184:185]      // 000000003D20: D3B04028 1EE08928
	v_pk_fma_f32 v[42:43], v[42:43], s[68:69], v[184:185]      // 000000003D28: D3B0402A 1EE0892A
	v_exp_f32_e32 v40, v40                                     // 000000003D30: 7E504128
	v_exp_f32_e32 v41, v41                                     // 000000003D34: 7E524129
	v_exp_f32_e32 v42, v42                                     // 000000003D38: 7E54412A
	v_exp_f32_e32 v43, v43                                     // 000000003D3C: 7E56412B
	v_max_f32_e32 v139, v149, v137                             // 000000003D40: 17171395
	v_mul_f32_e64 v184, -s51, v139                             // 000000003D44: D10500B8 20031633
	v_mov_b32_e32 v185, v184                                   // 000000003D4C: 7F7203B8
	v_pk_fma_f32 v[44:45], v[44:45], s[68:69], v[184:185]      // 000000003D50: D3B0402C 1EE0892C
	v_pk_fma_f32 v[46:47], v[46:47], s[68:69], v[184:185]      // 000000003D58: D3B0402E 1EE0892E
	v_exp_f32_e32 v44, v44                                     // 000000003D60: 7E58412C
	v_exp_f32_e32 v45, v45                                     // 000000003D64: 7E5A412D
	v_exp_f32_e32 v46, v46                                     // 000000003D68: 7E5C412E
	v_exp_f32_e32 v47, v47                                     // 000000003D6C: 7E5E412F
	v_pk_fma_f32 v[48:49], v[48:49], s[68:69], v[184:185]      // 000000003D70: D3B04030 1EE08930
	v_pk_fma_f32 v[50:51], v[50:51], s[68:69], v[184:185]      // 000000003D78: D3B04032 1EE08932
	v_exp_f32_e32 v48, v48                                     // 000000003D80: 7E604130
	v_exp_f32_e32 v49, v49                                     // 000000003D84: 7E624131
	v_exp_f32_e32 v50, v50                                     // 000000003D88: 7E644132
	v_exp_f32_e32 v51, v51                                     // 000000003D8C: 7E664133
	v_pk_fma_f32 v[52:53], v[52:53], s[68:69], v[184:185]      // 000000003D90: D3B04034 1EE08934
	v_pk_fma_f32 v[54:55], v[54:55], s[68:69], v[184:185]      // 000000003D98: D3B04036 1EE08936
	v_exp_f32_e32 v52, v52                                     // 000000003DA0: 7E684134
	v_exp_f32_e32 v53, v53                                     // 000000003DA4: 7E6A4135
	v_exp_f32_e32 v54, v54                                     // 000000003DA8: 7E6C4136
	v_exp_f32_e32 v55, v55                                     // 000000003DAC: 7E6E4137
	v_pk_fma_f32 v[56:57], v[56:57], s[68:69], v[184:185]      // 000000003DB0: D3B04038 1EE08938
	v_pk_fma_f32 v[58:59], v[58:59], s[68:69], v[184:185]      // 000000003DB8: D3B0403A 1EE0893A
	v_exp_f32_e32 v56, v56                                     // 000000003DC0: 7E704138
	v_exp_f32_e32 v57, v57                                     // 000000003DC4: 7E724139
	v_exp_f32_e32 v58, v58                                     // 000000003DC8: 7E74413A
	v_exp_f32_e32 v59, v59                                     // 000000003DCC: 7E76413B
	v_mul_f32_dpp v60, v131, v28 row_newbcast:0 row_mask:0xf bank_mask:0xf// 000000003DD0: 0A7838FA FF015083
	v_mul_f32_dpp v61, v131, v29 row_newbcast:1 row_mask:0xf bank_mask:0xf// 000000003DD8: 0A7A3AFA FF015183
	v_mul_f32_dpp v62, v131, v30 row_newbcast:2 row_mask:0xf bank_mask:0xf// 000000003DE0: 0A7C3CFA FF015283
	v_mul_f32_dpp v63, v131, v31 row_newbcast:3 row_mask:0xf bank_mask:0xf// 000000003DE8: 0A7E3EFA FF015383
	v_mul_f32_dpp v64, v131, v32 row_newbcast:4 row_mask:0xf bank_mask:0xf// 000000003DF0: 0A8040FA FF015483
	v_mul_f32_dpp v65, v131, v33 row_newbcast:5 row_mask:0xf bank_mask:0xf// 000000003DF8: 0A8242FA FF015583
	v_mul_f32_dpp v66, v131, v34 row_newbcast:6 row_mask:0xf bank_mask:0xf// 000000003E00: 0A8444FA FF015683
	v_mul_f32_dpp v67, v131, v35 row_newbcast:7 row_mask:0xf bank_mask:0xf// 000000003E08: 0A8646FA FF015783
	v_mul_f32_dpp v68, v131, v36 row_newbcast:8 row_mask:0xf bank_mask:0xf// 000000003E10: 0A8848FA FF015883
	v_mul_f32_dpp v69, v131, v37 row_newbcast:9 row_mask:0xf bank_mask:0xf// 000000003E18: 0A8A4AFA FF015983
	v_mul_f32_dpp v70, v131, v38 row_newbcast:10 row_mask:0xf bank_mask:0xf// 000000003E20: 0A8C4CFA FF015A83
	v_mul_f32_dpp v71, v131, v39 row_newbcast:11 row_mask:0xf bank_mask:0xf// 000000003E28: 0A8E4EFA FF015B83
	v_mul_f32_dpp v72, v131, v40 row_newbcast:12 row_mask:0xf bank_mask:0xf// 000000003E30: 0A9050FA FF015C83
	v_mul_f32_dpp v73, v131, v41 row_newbcast:13 row_mask:0xf bank_mask:0xf// 000000003E38: 0A9252FA FF015D83
	v_mul_f32_dpp v74, v131, v42 row_newbcast:14 row_mask:0xf bank_mask:0xf// 000000003E40: 0A9454FA FF015E83
	v_mul_f32_dpp v75, v131, v43 row_newbcast:15 row_mask:0xf bank_mask:0xf// 000000003E48: 0A9656FA FF015F83
	v_mul_f32_dpp v76, v131, v44 row_newbcast:0 row_mask:0xf bank_mask:0xf// 000000003E50: 0A9858FA FF015083
	v_mul_f32_dpp v77, v131, v45 row_newbcast:1 row_mask:0xf bank_mask:0xf// 000000003E58: 0A9A5AFA FF015183
	v_mul_f32_dpp v78, v131, v46 row_newbcast:2 row_mask:0xf bank_mask:0xf// 000000003E60: 0A9C5CFA FF015283
	v_mul_f32_dpp v79, v131, v47 row_newbcast:3 row_mask:0xf bank_mask:0xf// 000000003E68: 0A9E5EFA FF015383
	v_mul_f32_dpp v80, v131, v48 row_newbcast:4 row_mask:0xf bank_mask:0xf// 000000003E70: 0AA060FA FF015483
	v_mul_f32_dpp v81, v131, v49 row_newbcast:5 row_mask:0xf bank_mask:0xf// 000000003E78: 0AA262FA FF015583
	v_mul_f32_dpp v82, v131, v50 row_newbcast:6 row_mask:0xf bank_mask:0xf// 000000003E80: 0AA464FA FF015683
	v_mul_f32_dpp v83, v131, v51 row_newbcast:7 row_mask:0xf bank_mask:0xf// 000000003E88: 0AA666FA FF015783
	v_mul_f32_dpp v84, v131, v52 row_newbcast:8 row_mask:0xf bank_mask:0xf// 000000003E90: 0AA868FA FF015883
	v_mul_f32_dpp v85, v131, v53 row_newbcast:9 row_mask:0xf bank_mask:0xf// 000000003E98: 0AAA6AFA FF015983
	v_mul_f32_dpp v86, v131, v54 row_newbcast:10 row_mask:0xf bank_mask:0xf// 000000003EA0: 0AAC6CFA FF015A83
	v_mul_f32_dpp v87, v131, v55 row_newbcast:11 row_mask:0xf bank_mask:0xf// 000000003EA8: 0AAE6EFA FF015B83
	v_mul_f32_dpp v88, v131, v56 row_newbcast:12 row_mask:0xf bank_mask:0xf// 000000003EB0: 0AB070FA FF015C83
	v_mul_f32_dpp v89, v131, v57 row_newbcast:13 row_mask:0xf bank_mask:0xf// 000000003EB8: 0AB272FA FF015D83
	v_mul_f32_dpp v90, v131, v58 row_newbcast:14 row_mask:0xf bank_mask:0xf// 000000003EC0: 0AB474FA FF015E83
	v_mul_f32_dpp v91, v131, v59 row_newbcast:15 row_mask:0xf bank_mask:0xf// 000000003EC8: 0AB676FA FF015F83
	v_mov_b32_e32 v148, 0x358637bd                             // 000000003ED0: 7F2802FF 358637BD
	v_max3_f32 v148, |v60|, |v61|, v148                        // 000000003ED8: D1D30394 06527B3C
	v_max3_f32 v148, |v62|, |v63|, v148                        // 000000003EE0: D1D30394 06527F3E
	v_max3_f32 v148, |v64|, |v65|, v148                        // 000000003EE8: D1D30394 06528340
	v_max3_f32 v148, |v66|, |v67|, v148                        // 000000003EF0: D1D30394 06528742
	v_max3_f32 v148, |v68|, |v69|, v148                        // 000000003EF8: D1D30394 06528B44
	v_max3_f32 v148, |v70|, |v71|, v148                        // 000000003F00: D1D30394 06528F46
	v_max3_f32 v148, |v72|, |v73|, v148                        // 000000003F08: D1D30394 06529348
	v_max3_f32 v148, |v74|, |v75|, v148                        // 000000003F10: D1D30394 0652974A
	v_mov_b32_e32 v149, 0x358637bd                             // 000000003F18: 7F2A02FF 358637BD
	v_max3_f32 v149, |v76|, |v77|, v149                        // 000000003F20: D1D30395 06569B4C
	v_max3_f32 v149, |v78|, |v79|, v149                        // 000000003F28: D1D30395 06569F4E
	v_max3_f32 v149, |v80|, |v81|, v149                        // 000000003F30: D1D30395 0656A350
	v_max3_f32 v149, |v82|, |v83|, v149                        // 000000003F38: D1D30395 0656A752
	v_max3_f32 v149, |v84|, |v85|, v149                        // 000000003F40: D1D30395 0656AB54
	v_max3_f32 v149, |v86|, |v87|, v149                        // 000000003F48: D1D30395 0656AF56
	v_max3_f32 v149, |v88|, |v89|, v149                        // 000000003F50: D1D30395 0656B358
	v_max3_f32 v149, |v90|, |v91|, v149                        // 000000003F58: D1D30395 0656B75A
	ds_write_b64 v214, v[148:149] offset:2304                  // 000000003F60: D89A0900 000094D6
	buffer_load_dword v128, v206, s[28:31], 0 offen            // 000000003F68: E0501000 800780CE
	v_sub_f32_e32 v140, v136, v138                             // 000000003F70: 05191588
	v_cmp_eq_u32_e64 s[92:93], v195, v136                      // 000000003F74: D0CA005C 000311C3
	s_nop 0                                                    // 000000003F7C: BF800000
	v_cndmask_b32_e64 v140, v140, 0, s[92:93]                  // 000000003F80: D100008C 0171018C
	v_mov_b32_e32 v136, v138                                   // 000000003F88: 7F10038A
	v_mul_f32_e32 v140, s51, v140                              // 000000003F8C: 0B191833
	v_exp_f32_e32 v140, v140                                   // 000000003F90: 7F18418C
	v_sub_f32_e32 v142, v137, v139                             // 000000003F94: 051D1789
	v_cmp_eq_u32_e64 s[92:93], v195, v137                      // 000000003F98: D0CA005C 000313C3
	s_nop 0                                                    // 000000003FA0: BF800000
	v_cndmask_b32_e64 v142, v142, 0, s[92:93]                  // 000000003FA4: D100008E 0171018E
	v_mov_b32_e32 v137, v139                                   // 000000003FAC: 7F12038B
	v_mul_f32_e32 v142, s51, v142                              // 000000003FB0: 0B1D1C33
	v_exp_f32_e32 v142, v142                                   // 000000003FB4: 7F1C418E
	v_mov_b32_e32 v141, v140                                   // 000000003FB8: 7F1A038C
	v_mov_b32_e32 v143, v142                                   // 000000003FBC: 7F1E038E
	buffer_load_dword v130, v207, s[32:35], 0 offen            // 000000003FC0: E0501000 800882CF
	s_waitcnt lgkmcnt(0)                                       // 000000003FC8: BF8CC07F
	s_barrier                                                  // 000000003FCC: BF8A0000
	ds_read_b64 v[152:153], v215 offset:2304                   // 000000003FD0: D8EC0900 980000D7
	ds_read_b64 v[154:155], v215 offset:2432                   // 000000003FD8: D8EC0980 9A0000D7
	ds_read_b64 v[156:157], v215 offset:2560                   // 000000003FE0: D8EC0A00 9C0000D7
	ds_read_b64 v[158:159], v215 offset:2688                   // 000000003FE8: D8EC0A80 9E0000D7
	ds_read_b64 v[160:161], v215 offset:2816                   // 000000003FF0: D8EC0B00 A00000D7
	ds_read_b64 v[162:163], v215 offset:2944                   // 000000003FF8: D8EC0B80 A20000D7
	ds_read_b64 v[164:165], v215 offset:3072                   // 000000004000: D8EC0C00 A40000D7
	ds_read_b64 v[166:167], v215 offset:3200                   // 000000004008: D8EC0C80 A60000D7
	ds_read_b64 v[168:169], v215 offset:3328                   // 000000004010: D8EC0D00 A80000D7
	ds_read_b64 v[170:171], v215 offset:3456                   // 000000004018: D8EC0D80 AA0000D7
	ds_read_b64 v[172:173], v215 offset:3584                   // 000000004020: D8EC0E00 AC0000D7
	ds_read_b64 v[174:175], v215 offset:3712                   // 000000004028: D8EC0E80 AE0000D7
	ds_read_b64 v[176:177], v215 offset:3840                   // 000000004030: D8EC0F00 B00000D7
	ds_read_b64 v[178:179], v215 offset:3968                   // 000000004038: D8EC0F80 B20000D7
	ds_read_b64 v[180:181], v215 offset:4096                   // 000000004040: D8EC1000 B40000D7
	ds_read_b64 v[182:183], v215 offset:4224                   // 000000004048: D8EC1080 B60000D7
	v_mul_f32_e32 v144, v140, v144                             // 000000004050: 0B21218C
	v_add_f32_e32 v144, v28, v144                              // 000000004054: 0321211C
	v_add_f32_e32 v144, v29, v144                              // 000000004058: 0321211D
	v_add_f32_e32 v144, v30, v144                              // 00000000405C: 0321211E
	v_add_f32_e32 v144, v31, v144                              // 000000004060: 0321211F
	v_add_f32_e32 v144, v32, v144                              // 000000004064: 03212120
	v_add_f32_e32 v144, v33, v144                              // 000000004068: 03212121
	v_add_f32_e32 v144, v34, v144                              // 00000000406C: 03212122
	v_add_f32_e32 v144, v35, v144                              // 000000004070: 03212123
	v_add_f32_e32 v144, v36, v144                              // 000000004074: 03212124
	;; [unrolled: 1-line block ×3, first 2 shown]
	v_add_f32_e32 v144, v38, v144                              // 00000000407C: 03212126
	v_add_f32_e32 v144, v39, v144                              // 000000004080: 03212127
	v_add_f32_e32 v144, v40, v144                              // 000000004084: 03212128
	;; [unrolled: 1-line block ×3, first 2 shown]
	v_add_f32_e32 v144, v42, v144                              // 00000000408C: 0321212A
	v_add_f32_e32 v144, v43, v144                              // 000000004090: 0321212B
	v_mul_f32_e32 v145, v142, v145                             // 000000004094: 0B23238E
	v_add_f32_e32 v145, v44, v145                              // 000000004098: 0323232C
	v_add_f32_e32 v145, v45, v145                              // 00000000409C: 0323232D
	v_add_f32_e32 v145, v46, v145                              // 0000000040A0: 0323232E
	v_add_f32_e32 v145, v47, v145                              // 0000000040A4: 0323232F
	v_add_f32_e32 v145, v48, v145                              // 0000000040A8: 03232330
	v_add_f32_e32 v145, v49, v145                              // 0000000040AC: 03232331
	v_add_f32_e32 v145, v50, v145                              // 0000000040B0: 03232332
	v_add_f32_e32 v145, v51, v145                              // 0000000040B4: 03232333
	v_add_f32_e32 v145, v52, v145                              // 0000000040B8: 03232334
	v_add_f32_e32 v145, v53, v145                              // 0000000040BC: 03232335
	v_add_f32_e32 v145, v54, v145                              // 0000000040C0: 03232336
	v_add_f32_e32 v145, v55, v145                              // 0000000040C4: 03232337
	v_add_f32_e32 v145, v56, v145                              // 0000000040C8: 03232338
	v_add_f32_e32 v145, v57, v145                              // 0000000040CC: 03232339
	v_add_f32_e32 v145, v58, v145                              // 0000000040D0: 0323233A
	v_add_f32_e32 v145, v59, v145                              // 0000000040D4: 0323233B
	s_waitcnt lgkmcnt(0)                                       // 0000000040D8: BF8CC07F
	v_max3_f32 v148, v152, v154, v148                          // 0000000040DC: D1D30094 06533598
	v_max3_f32 v149, v153, v155, v149                          // 0000000040E4: D1D30095 06573799
	v_max3_f32 v148, v156, v158, v148                          // 0000000040EC: D1D30094 06533D9C
	v_max3_f32 v149, v157, v159, v149                          // 0000000040F4: D1D30095 06573F9D
	v_max3_f32 v148, v160, v162, v148                          // 0000000040FC: D1D30094 065345A0
	v_max3_f32 v149, v161, v163, v149                          // 000000004104: D1D30095 065747A1
	v_max3_f32 v148, v164, v166, v148                          // 00000000410C: D1D30094 06534DA4
	v_max3_f32 v149, v165, v167, v149                          // 000000004114: D1D30095 06574FA5
	v_max3_f32 v148, v168, v170, v148                          // 00000000411C: D1D30094 065355A8
	v_max3_f32 v149, v169, v171, v149                          // 000000004124: D1D30095 065757A9
	v_max3_f32 v148, v172, v174, v148                          // 00000000412C: D1D30094 06535DAC
	v_max3_f32 v149, v173, v175, v149                          // 000000004134: D1D30095 06575FAD
	v_max3_f32 v148, v176, v178, v148                          // 00000000413C: D1D30094 065365B0
	v_max3_f32 v149, v177, v179, v149                          // 000000004144: D1D30095 065767B1
	v_max3_f32 v148, v180, v182, v148                          // 00000000414C: D1D30094 06536DB4
	v_max3_f32 v149, v181, v183, v149                          // 000000004154: D1D30095 06576FB5
	v_rcp_f32_e32 v148, v148                                   // 00000000415C: 7F284594
	v_rcp_f32_e32 v149, v149                                   // 000000004160: 7F2A4595
	v_mul_f32_e32 v148, 0x43700000, v148                       // 000000004164: 0B2928FF 43700000
	v_mul_f32_e32 v149, 0x43700000, v149                       // 00000000416C: 0B2B2AFF 43700000
	v_mov_b32_e32 v150, v149                                   // 000000004174: 7F2C0395
	v_mov_b32_e32 v151, v149                                   // 000000004178: 7F2E0395
	v_mov_b32_e32 v149, v148                                   // 00000000417C: 7F2A0394
	v_pk_mul_f32 v[28:29], v[148:149], v[60:61]                // 000000004180: D3B1401C 18027994
	v_pk_mul_f32 v[30:31], v[148:149], v[62:63]                // 000000004188: D3B1401E 18027D94
	v_pk_mul_f32 v[32:33], v[148:149], v[64:65]                // 000000004190: D3B14020 18028194
	v_pk_mul_f32 v[34:35], v[148:149], v[66:67]                // 000000004198: D3B14022 18028594
	v_pk_mul_f32 v[36:37], v[148:149], v[68:69]                // 0000000041A0: D3B14024 18028994
	v_pk_mul_f32 v[38:39], v[148:149], v[70:71]                // 0000000041A8: D3B14026 18028D94
	v_pk_mul_f32 v[40:41], v[148:149], v[72:73]                // 0000000041B0: D3B14028 18029194
	v_pk_mul_f32 v[42:43], v[148:149], v[74:75]                // 0000000041B8: D3B1402A 18029594
	v_pk_mul_f32 v[44:45], v[150:151], v[76:77]                // 0000000041C0: D3B1402C 18029996
	v_pk_mul_f32 v[46:47], v[150:151], v[78:79]                // 0000000041C8: D3B1402E 18029D96
	v_pk_mul_f32 v[48:49], v[150:151], v[80:81]                // 0000000041D0: D3B14030 1802A196
	v_pk_mul_f32 v[50:51], v[150:151], v[82:83]                // 0000000041D8: D3B14032 1802A596
	v_pk_mul_f32 v[52:53], v[150:151], v[84:85]                // 0000000041E0: D3B14034 1802A996
	v_pk_mul_f32 v[54:55], v[150:151], v[86:87]                // 0000000041E8: D3B14036 1802AD96
	v_pk_mul_f32 v[56:57], v[150:151], v[88:89]                // 0000000041F0: D3B14038 1802B196
	v_pk_mul_f32 v[58:59], v[150:151], v[90:91]                // 0000000041F8: D3B1403A 1802B596
	v_cvt_pk_fp8_f32 v28, v28, v29                             // 000000004200: D2A2001C 00023B1C
	v_cvt_pk_fp8_f32 v28, v30, v31 op_sel:[0,0,1]              // 000000004208: D2A2401C 00023F1E
	v_cvt_pk_fp8_f32 v29, v32, v33                             // 000000004210: D2A2001D 00024320
	v_cvt_pk_fp8_f32 v29, v34, v35 op_sel:[0,0,1]              // 000000004218: D2A2401D 00024722
	v_cvt_pk_fp8_f32 v30, v36, v37                             // 000000004220: D2A2001E 00024B24
	v_cvt_pk_fp8_f32 v30, v38, v39 op_sel:[0,0,1]              // 000000004228: D2A2401E 00024F26
	v_cvt_pk_fp8_f32 v31, v40, v41                             // 000000004230: D2A2001F 00025328
	v_cvt_pk_fp8_f32 v31, v42, v43 op_sel:[0,0,1]              // 000000004238: D2A2401F 0002572A
	v_cvt_pk_fp8_f32 v32, v44, v45                             // 000000004240: D2A20020 00025B2C
	v_cvt_pk_fp8_f32 v32, v46, v47 op_sel:[0,0,1]              // 000000004248: D2A24020 00025F2E
	v_cvt_pk_fp8_f32 v33, v48, v49                             // 000000004250: D2A20021 00026330
	v_cvt_pk_fp8_f32 v33, v50, v51 op_sel:[0,0,1]              // 000000004258: D2A24021 00026732
	v_cvt_pk_fp8_f32 v34, v52, v53                             // 000000004260: D2A20022 00026B34
	v_cvt_pk_fp8_f32 v34, v54, v55 op_sel:[0,0,1]              // 000000004268: D2A24022 00026F36
	v_cvt_pk_fp8_f32 v35, v56, v57                             // 000000004270: D2A20023 00027338
	v_cvt_pk_fp8_f32 v35, v58, v59 op_sel:[0,0,1]              // 000000004278: D2A24023 0002773A
	ds_write_b32 v216, v28 offset:4608                         // 000000004280: D81A1200 00001CD8
	ds_write_b32 v216, v29 offset:5632                         // 000000004288: D81A1600 00001DD8
	ds_write_b32 v216, v30 offset:6656                         // 000000004290: D81A1A00 00001ED8
	ds_write_b32 v216, v31 offset:7680                         // 000000004298: D81A1E00 00001FD8
	ds_write_b32 v216, v32 offset:8704                         // 0000000042A0: D81A2200 000020D8
	ds_write_b32 v216, v33 offset:9728                         // 0000000042A8: D81A2600 000021D8
	ds_write_b32 v216, v34 offset:10752                        // 0000000042B0: D81A2A00 000022D8
	ds_write_b32 v216, v35 offset:11776                        // 0000000042B8: D81A2E00 000023D8
	v_rcp_f32_e32 v132, v148                                   // 0000000042C0: 7F084594
	v_rcp_f32_e32 v134, v150                                   // 0000000042C4: 7F0C4596
	v_mov_b32_e32 v133, v132                                   // 0000000042C8: 7F0A0384
	v_mov_b32_e32 v135, v134                                   // 0000000042CC: 7F0E0386
	v_pk_add_f32 v[108:109], v[108:109], v[92:93]              // 0000000042D0: D3B2406C 1802B96C
	v_pk_add_f32 v[110:111], v[110:111], v[94:95]              // 0000000042D8: D3B2406E 1802BD6E
	v_pk_add_f32 v[112:113], v[112:113], v[96:97]              // 0000000042E0: D3B24070 1802C170
	v_pk_add_f32 v[114:115], v[114:115], v[98:99]              // 0000000042E8: D3B24072 1802C572
	v_pk_add_f32 v[116:117], v[116:117], v[100:101]            // 0000000042F0: D3B24074 1802C974
	v_pk_add_f32 v[118:119], v[118:119], v[102:103]            // 0000000042F8: D3B24076 1802CD76
	v_pk_add_f32 v[120:121], v[120:121], v[104:105]            // 000000004300: D3B24078 1802D178
	v_pk_add_f32 v[122:123], v[122:123], v[106:107]            // 000000004308: D3B2407A 1802D57A
	s_waitcnt lgkmcnt(0)                                       // 000000004310: BF8CC07F
	s_barrier                                                  // 000000004314: BF8A0000
	ds_read_b128 v[28:31], v217 offset:4608                    // 000000004318: D9FE1200 1C0000D9
	ds_read_b128 v[32:35], v217 offset:5632                    // 000000004320: D9FE1600 200000D9
	ds_read_b128 v[36:39], v217 offset:6656                    // 000000004328: D9FE1A00 240000D9
	ds_read_b128 v[40:43], v217 offset:7680                    // 000000004330: D9FE1E00 280000D9
	ds_read_b128 v[44:47], v217 offset:8704                    // 000000004338: D9FE2200 2C0000D9
	ds_read_b128 v[48:51], v217 offset:9728                    // 000000004340: D9FE2600 300000D9
	ds_read_b128 v[52:55], v217 offset:10752                   // 000000004348: D9FE2A00 340000D9
	ds_read_b128 v[56:59], v217 offset:11776                   // 000000004350: D9FE2E00 380000D9
	s_waitcnt vmcnt(10)                                        // 000000004358: BF8C0F7A
	s_waitcnt lgkmcnt(7)                                       // 00000000435C: BF8CC77F
	v_mfma_f32_16x16x32_fp8_fp8 v[92:95], a[96:97], v[28:29], 0// 000000004360: D3F3005C 0A023960
	v_mfma_f32_16x16x32_fp8_fp8 v[96:99], a[112:113], v[28:29], 0// 000000004368: D3F30060 0A023970
	v_mfma_f32_16x16x32_fp8_fp8 v[92:95], a[98:99], v[30:31], v[92:95]// 000000004370: D3F3005C 0D723D62
	buffer_load_dwordx4 a[64:67], v202, s[16:19], 0 offen      // 000000004378: E05C1000 808440CA
	v_mfma_f32_16x16x32_fp8_fp8 v[96:99], a[114:115], v[30:31], v[96:99]// 000000004380: D3F30060 0D823D72
	s_waitcnt lgkmcnt(6)                                       // 000000004388: BF8CC67F
	v_mfma_f32_16x16x32_fp8_fp8 v[92:95], a[100:101], v[32:33], v[92:95]// 00000000438C: D3F3005C 0D724164
	v_mfma_f32_16x16x32_fp8_fp8 v[96:99], a[116:117], v[32:33], v[96:99]// 000000004394: D3F30060 0D824174
	v_mfma_f32_16x16x32_fp8_fp8 v[92:95], a[102:103], v[34:35], v[92:95]// 00000000439C: D3F3005C 0D724566
	buffer_load_dwordx4 a[68:71], v203, s[16:19], 0 offen      // 0000000043A4: E05C1000 808444CB
	v_mfma_f32_16x16x32_fp8_fp8 v[96:99], a[118:119], v[34:35], v[96:99]// 0000000043AC: D3F30060 0D824576
	s_waitcnt lgkmcnt(5)                                       // 0000000043B4: BF8CC57F
	v_mfma_f32_16x16x32_fp8_fp8 v[92:95], a[104:105], v[36:37], v[92:95]// 0000000043B8: D3F3005C 0D724968
	v_mfma_f32_16x16x32_fp8_fp8 v[96:99], a[120:121], v[36:37], v[96:99]// 0000000043C0: D3F30060 0D824978
	v_mfma_f32_16x16x32_fp8_fp8 v[92:95], a[106:107], v[38:39], v[92:95]// 0000000043C8: D3F3005C 0D724D6A
	buffer_load_dwordx4 a[72:75], v204, s[16:19], 0 offen      // 0000000043D0: E05C1000 808448CC
	v_mfma_f32_16x16x32_fp8_fp8 v[96:99], a[122:123], v[38:39], v[96:99]// 0000000043D8: D3F30060 0D824D7A
	s_waitcnt lgkmcnt(4)                                       // 0000000043E0: BF8CC47F
	v_mfma_f32_16x16x32_fp8_fp8 v[92:95], a[108:109], v[40:41], v[92:95]// 0000000043E4: D3F3005C 0D72516C
	v_mfma_f32_16x16x32_fp8_fp8 v[96:99], a[124:125], v[40:41], v[96:99]// 0000000043EC: D3F30060 0D82517C
	v_mfma_f32_16x16x32_fp8_fp8 v[92:95], a[110:111], v[42:43], v[92:95]// 0000000043F4: D3F3005C 0D72556E
	buffer_load_dwordx4 a[76:79], v205, s[16:19], 0 offen      // 0000000043FC: E05C1000 80844CCD
	v_mfma_f32_16x16x32_fp8_fp8 v[96:99], a[126:127], v[42:43], v[96:99]// 000000004404: D3F30060 0D82557E
	s_waitcnt lgkmcnt(3)                                       // 00000000440C: BF8CC37F
	v_mfma_f32_16x16x32_fp8_fp8 v[100:103], a[96:97], v[44:45], 0// 000000004410: D3F30064 0A025960
	v_mfma_f32_16x16x32_fp8_fp8 v[104:107], a[112:113], v[44:45], 0// 000000004418: D3F30068 0A025970
	v_mfma_f32_16x16x32_fp8_fp8 v[100:103], a[98:99], v[46:47], v[100:103]// 000000004420: D3F30064 0D925D62
	buffer_load_dwordx4 a[80:83], v202, s[16:19], 0 offen offset:1024// 000000004428: E05C1400 808450CA
	v_mfma_f32_16x16x32_fp8_fp8 v[104:107], a[114:115], v[46:47], v[104:107]// 000000004430: D3F30068 0DA25D72
	s_waitcnt lgkmcnt(2)                                       // 000000004438: BF8CC27F
	v_mfma_f32_16x16x32_fp8_fp8 v[100:103], a[100:101], v[48:49], v[100:103]// 00000000443C: D3F30064 0D926164
	v_mfma_f32_16x16x32_fp8_fp8 v[104:107], a[116:117], v[48:49], v[104:107]// 000000004444: D3F30068 0DA26174
	v_mfma_f32_16x16x32_fp8_fp8 v[100:103], a[102:103], v[50:51], v[100:103]// 00000000444C: D3F30064 0D926566
	buffer_load_dwordx4 a[84:87], v203, s[16:19], 0 offen offset:1024// 000000004454: E05C1400 808454CB
	v_mfma_f32_16x16x32_fp8_fp8 v[104:107], a[118:119], v[50:51], v[104:107]// 00000000445C: D3F30068 0DA26576
	s_waitcnt lgkmcnt(1)                                       // 000000004464: BF8CC17F
	v_mfma_f32_16x16x32_fp8_fp8 v[100:103], a[104:105], v[52:53], v[100:103]// 000000004468: D3F30064 0D926968
	v_mfma_f32_16x16x32_fp8_fp8 v[104:107], a[120:121], v[52:53], v[104:107]// 000000004470: D3F30068 0DA26978
	v_mfma_f32_16x16x32_fp8_fp8 v[100:103], a[106:107], v[54:55], v[100:103]// 000000004478: D3F30064 0D926D6A
	buffer_load_dwordx4 a[88:91], v204, s[16:19], 0 offen offset:1024// 000000004480: E05C1400 808458CC
	v_mfma_f32_16x16x32_fp8_fp8 v[104:107], a[122:123], v[54:55], v[104:107]// 000000004488: D3F30068 0DA26D7A
	s_waitcnt lgkmcnt(0)                                       // 000000004490: BF8CC07F
	v_mfma_f32_16x16x32_fp8_fp8 v[100:103], a[108:109], v[56:57], v[100:103]// 000000004494: D3F30064 0D92716C
	v_mfma_f32_16x16x32_fp8_fp8 v[104:107], a[124:125], v[56:57], v[104:107]// 00000000449C: D3F30068 0DA2717C
	v_mfma_f32_16x16x32_fp8_fp8 v[100:103], a[110:111], v[58:59], v[100:103]// 0000000044A4: D3F30064 0D92756E
	buffer_load_dwordx4 a[92:95], v205, s[16:19], 0 offen offset:1024// 0000000044AC: E05C1400 80845CCD
	v_mfma_f32_16x16x32_fp8_fp8 v[104:107], a[126:127], v[58:59], v[104:107]// 0000000044B4: D3F30068 0DA2757E
	s_addk_i32 s49, 0x100                                      // 0000000044BC: B7310100
	s_cmp_lt_i32 s49, s50                                      // 0000000044C0: BF043231
	s_cbranch_scc0 label_2512                                  // 0000000044C4: BF841C20
	s_waitcnt vmcnt(10)                                        // 0000000044C8: BF8C0F7A
	v_mfma_f32_16x16x32_fp8_fp8 v[28:31], a[0:1], v[12:13], 0  // 0000000044CC: D3F3001C 0A021900
	s_add_u32 s12, s84, s64                                    // 0000000044D4: 800C4054
	s_addc_u32 s13, s85, 0                                     // 0000000044D8: 820D8055
	v_mfma_f32_16x16x32_fp8_fp8 v[28:31], a[2:3], v[14:15], v[28:31]// 0000000044DC: D3F3001C 0C721D02
	s_add_u32 s16, s86, s65                                    // 0000000044E4: 80104156
	s_addc_u32 s17, s87, 0                                     // 0000000044E8: 82118057
	v_mfma_f32_16x16x32_fp8_fp8 v[28:31], a[4:5], v[16:17], v[28:31]// 0000000044EC: D3F3001C 0C722104
	buffer_load_dwordx4 a[32:35], v200, s[12:15], 0 offen      // 0000000044F4: E05C1000 808320C8
	v_mfma_f32_16x16x32_fp8_fp8 v[28:31], a[6:7], v[18:19], v[28:31]// 0000000044FC: D3F3001C 0C722506
	s_add_u32 s28, s88, s66                                    // 000000004504: 801C4258
	s_addc_u32 s29, s89, 0                                     // 000000004508: 821D8059
	v_mfma_f32_16x16x32_fp8_fp8 v[32:35], a[8:9], v[12:13], 0  // 00000000450C: D3F30020 0A021908
	s_add_u32 s32, s90, s66                                    // 000000004514: 8020425A
	s_addc_u32 s33, s91, 0                                     // 000000004518: 8221805B
	v_mfma_f32_16x16x32_fp8_fp8 v[32:35], a[10:11], v[14:15], v[32:35]// 00000000451C: D3F30020 0C821D0A
	s_mul_i32 s64, s61, s56                                    // 000000004524: 9240383D
	s_mov_b32 s65, s64                                         // 000000004528: BEC10040
	v_mfma_f32_16x16x32_fp8_fp8 v[32:35], a[12:13], v[16:17], v[32:35]// 00000000452C: D3F30020 0C82210C
	buffer_load_dwordx4 a[36:39], v201, s[12:15], 0 offen      // 000000004534: E05C1000 808324C9
	v_mfma_f32_16x16x32_fp8_fp8 v[32:35], a[14:15], v[18:19], v[32:35]// 00000000453C: D3F30020 0C82250E
	s_mul_i32 s66, s61, s58                                    // 000000004544: 92423A3D
	v_mfma_f32_16x16x32_fp8_fp8 v[36:39], a[16:17], v[12:13], 0// 000000004548: D3F30024 0A021910
	v_mfma_f32_16x16x32_fp8_fp8 v[36:39], a[18:19], v[14:15], v[36:39]// 000000004550: D3F30024 0C921D12
	v_mfma_f32_16x16x32_fp8_fp8 v[36:39], a[20:21], v[16:17], v[36:39]// 000000004558: D3F30024 0C922114
	buffer_load_dwordx4 a[40:43], v200, s[12:15], 0 offen offset:1024// 000000004560: E05C1400 808328C8
	v_mfma_f32_16x16x32_fp8_fp8 v[36:39], a[22:23], v[18:19], v[36:39]// 000000004568: D3F30024 0C922516
	v_mfma_f32_16x16x32_fp8_fp8 v[40:43], a[24:25], v[12:13], 0// 000000004570: D3F30028 0A021918
	v_mfma_f32_16x16x32_fp8_fp8 v[40:43], a[26:27], v[14:15], v[40:43]// 000000004578: D3F30028 0CA21D1A
	v_mfma_f32_16x16x32_fp8_fp8 v[40:43], a[28:29], v[16:17], v[40:43]// 000000004580: D3F30028 0CA2211C
	buffer_load_dwordx4 a[44:47], v201, s[12:15], 0 offen offset:1024// 000000004588: E05C1400 80832CC9
	v_mfma_f32_16x16x32_fp8_fp8 v[40:43], a[30:31], v[18:19], v[40:43]// 000000004590: D3F30028 0CA2251E
	v_mfma_f32_16x16x32_fp8_fp8 v[44:47], a[0:1], v[20:21], 0  // 000000004598: D3F3002C 0A022900
	v_mfma_f32_16x16x32_fp8_fp8 v[44:47], a[2:3], v[22:23], v[44:47]// 0000000045A0: D3F3002C 0CB22D02
	v_mfma_f32_16x16x32_fp8_fp8 v[44:47], a[4:5], v[24:25], v[44:47]// 0000000045A8: D3F3002C 0CB23104
	buffer_load_dwordx4 a[48:51], v200, s[12:15], 0 offen offset:2048// 0000000045B0: E05C1800 808330C8
	v_mfma_f32_16x16x32_fp8_fp8 v[44:47], a[6:7], v[26:27], v[44:47]// 0000000045B8: D3F3002C 0CB23506
	v_mfma_f32_16x16x32_fp8_fp8 v[48:51], a[8:9], v[20:21], 0  // 0000000045C0: D3F30030 0A022908
	v_mfma_f32_16x16x32_fp8_fp8 v[48:51], a[10:11], v[22:23], v[48:51]// 0000000045C8: D3F30030 0CC22D0A
	v_mfma_f32_16x16x32_fp8_fp8 v[48:51], a[12:13], v[24:25], v[48:51]// 0000000045D0: D3F30030 0CC2310C
	buffer_load_dwordx4 a[52:55], v201, s[12:15], 0 offen offset:2048// 0000000045D8: E05C1800 808334C9
	v_mfma_f32_16x16x32_fp8_fp8 v[48:51], a[14:15], v[26:27], v[48:51]// 0000000045E0: D3F30030 0CC2350E
	v_mfma_f32_16x16x32_fp8_fp8 v[52:55], a[16:17], v[20:21], 0// 0000000045E8: D3F30034 0A022910
	v_mfma_f32_16x16x32_fp8_fp8 v[52:55], a[18:19], v[22:23], v[52:55]// 0000000045F0: D3F30034 0CD22D12
	v_mfma_f32_16x16x32_fp8_fp8 v[52:55], a[20:21], v[24:25], v[52:55]// 0000000045F8: D3F30034 0CD23114
	buffer_load_dwordx4 a[56:59], v200, s[12:15], 0 offen offset:3072// 000000004600: E05C1C00 808338C8
	v_mfma_f32_16x16x32_fp8_fp8 v[52:55], a[22:23], v[26:27], v[52:55]// 000000004608: D3F30034 0CD23516
	v_mfma_f32_16x16x32_fp8_fp8 v[56:59], a[24:25], v[20:21], 0// 000000004610: D3F30038 0A022918
	v_mfma_f32_16x16x32_fp8_fp8 v[56:59], a[26:27], v[22:23], v[56:59]// 000000004618: D3F30038 0CE22D1A
	v_mfma_f32_16x16x32_fp8_fp8 v[56:59], a[28:29], v[24:25], v[56:59]// 000000004620: D3F30038 0CE2311C
	buffer_load_dwordx4 a[60:63], v201, s[12:15], 0 offen offset:3072// 000000004628: E05C1C00 80833CC9
	v_mfma_f32_16x16x32_fp8_fp8 v[56:59], a[30:31], v[26:27], v[56:59]// 000000004630: D3F30038 0CE2351E
	s_waitcnt vmcnt(16)                                        // 000000004638: BF8C4F70
	v_pk_mul_f32 v[28:29], v[124:125], v[28:29]                // 00000000463C: D3B1401C 1802397C
	v_pk_mul_f32 v[30:31], v[124:125], v[30:31]                // 000000004644: D3B1401E 18023D7C
	v_mul_f32_dpp v28, v128, v28 row_newbcast:0 row_mask:0xf bank_mask:0xf// 00000000464C: 0A3838FA FF015080
	v_mul_f32_dpp v29, v128, v29 row_newbcast:1 row_mask:0xf bank_mask:0xf// 000000004654: 0A3A3AFA FF015180
	v_mul_f32_dpp v30, v128, v30 row_newbcast:2 row_mask:0xf bank_mask:0xf// 00000000465C: 0A3C3CFA FF015280
	v_mul_f32_dpp v31, v128, v31 row_newbcast:3 row_mask:0xf bank_mask:0xf// 000000004664: 0A3E3EFA FF015380
	v_pk_mul_f32 v[32:33], v[124:125], v[32:33]                // 00000000466C: D3B14020 1802417C
	v_pk_mul_f32 v[34:35], v[124:125], v[34:35]                // 000000004674: D3B14022 1802457C
	v_mul_f32_dpp v32, v128, v32 row_newbcast:4 row_mask:0xf bank_mask:0xf// 00000000467C: 0A4040FA FF015480
	v_mul_f32_dpp v33, v128, v33 row_newbcast:5 row_mask:0xf bank_mask:0xf// 000000004684: 0A4242FA FF015580
	v_mul_f32_dpp v34, v128, v34 row_newbcast:6 row_mask:0xf bank_mask:0xf// 00000000468C: 0A4444FA FF015680
	v_mul_f32_dpp v35, v128, v35 row_newbcast:7 row_mask:0xf bank_mask:0xf// 000000004694: 0A4646FA FF015780
	v_pk_mul_f32 v[36:37], v[124:125], v[36:37]                // 00000000469C: D3B14024 1802497C
	v_pk_mul_f32 v[38:39], v[124:125], v[38:39]                // 0000000046A4: D3B14026 18024D7C
	v_mul_f32_dpp v36, v128, v36 row_newbcast:8 row_mask:0xf bank_mask:0xf// 0000000046AC: 0A4848FA FF015880
	v_mul_f32_dpp v37, v128, v37 row_newbcast:9 row_mask:0xf bank_mask:0xf// 0000000046B4: 0A4A4AFA FF015980
	v_mul_f32_dpp v38, v128, v38 row_newbcast:10 row_mask:0xf bank_mask:0xf// 0000000046BC: 0A4C4CFA FF015A80
	v_mul_f32_dpp v39, v128, v39 row_newbcast:11 row_mask:0xf bank_mask:0xf// 0000000046C4: 0A4E4EFA FF015B80
	v_pk_mul_f32 v[40:41], v[124:125], v[40:41]                // 0000000046CC: D3B14028 1802517C
	v_pk_mul_f32 v[42:43], v[124:125], v[42:43]                // 0000000046D4: D3B1402A 1802557C
	v_mul_f32_dpp v40, v128, v40 row_newbcast:12 row_mask:0xf bank_mask:0xf// 0000000046DC: 0A5050FA FF015C80
	v_mul_f32_dpp v41, v128, v41 row_newbcast:13 row_mask:0xf bank_mask:0xf// 0000000046E4: 0A5252FA FF015D80
	v_mul_f32_dpp v42, v128, v42 row_newbcast:14 row_mask:0xf bank_mask:0xf// 0000000046EC: 0A5454FA FF015E80
	v_mul_f32_dpp v43, v128, v43 row_newbcast:15 row_mask:0xf bank_mask:0xf// 0000000046F4: 0A5656FA FF015F80
	v_pk_mul_f32 v[44:45], v[126:127], v[44:45]                // 0000000046FC: D3B1402C 1802597E
	v_pk_mul_f32 v[46:47], v[126:127], v[46:47]                // 000000004704: D3B1402E 18025D7E
	v_mul_f32_dpp v44, v128, v44 row_newbcast:0 row_mask:0xf bank_mask:0xf// 00000000470C: 0A5858FA FF015080
	v_mul_f32_dpp v45, v128, v45 row_newbcast:1 row_mask:0xf bank_mask:0xf// 000000004714: 0A5A5AFA FF015180
	v_mul_f32_dpp v46, v128, v46 row_newbcast:2 row_mask:0xf bank_mask:0xf// 00000000471C: 0A5C5CFA FF015280
	v_mul_f32_dpp v47, v128, v47 row_newbcast:3 row_mask:0xf bank_mask:0xf// 000000004724: 0A5E5EFA FF015380
	v_pk_mul_f32 v[48:49], v[126:127], v[48:49]                // 00000000472C: D3B14030 1802617E
	v_pk_mul_f32 v[50:51], v[126:127], v[50:51]                // 000000004734: D3B14032 1802657E
	v_mul_f32_dpp v48, v128, v48 row_newbcast:4 row_mask:0xf bank_mask:0xf// 00000000473C: 0A6060FA FF015480
	v_mul_f32_dpp v49, v128, v49 row_newbcast:5 row_mask:0xf bank_mask:0xf// 000000004744: 0A6262FA FF015580
	v_mul_f32_dpp v50, v128, v50 row_newbcast:6 row_mask:0xf bank_mask:0xf// 00000000474C: 0A6464FA FF015680
	v_mul_f32_dpp v51, v128, v51 row_newbcast:7 row_mask:0xf bank_mask:0xf// 000000004754: 0A6666FA FF015780
	v_pk_mul_f32 v[52:53], v[126:127], v[52:53]                // 00000000475C: D3B14034 1802697E
	v_pk_mul_f32 v[54:55], v[126:127], v[54:55]                // 000000004764: D3B14036 18026D7E
	v_mul_f32_dpp v52, v128, v52 row_newbcast:8 row_mask:0xf bank_mask:0xf// 00000000476C: 0A6868FA FF015880
	v_mul_f32_dpp v53, v128, v53 row_newbcast:9 row_mask:0xf bank_mask:0xf// 000000004774: 0A6A6AFA FF015980
	v_mul_f32_dpp v54, v128, v54 row_newbcast:10 row_mask:0xf bank_mask:0xf// 00000000477C: 0A6C6CFA FF015A80
	v_mul_f32_dpp v55, v128, v55 row_newbcast:11 row_mask:0xf bank_mask:0xf// 000000004784: 0A6E6EFA FF015B80
	v_pk_mul_f32 v[56:57], v[126:127], v[56:57]                // 00000000478C: D3B14038 1802717E
	v_pk_mul_f32 v[58:59], v[126:127], v[58:59]                // 000000004794: D3B1403A 1802757E
	v_mul_f32_dpp v56, v128, v56 row_newbcast:12 row_mask:0xf bank_mask:0xf// 00000000479C: 0A7070FA FF015C80
	v_mul_f32_dpp v57, v128, v57 row_newbcast:13 row_mask:0xf bank_mask:0xf// 0000000047A4: 0A7272FA FF015D80
	v_mul_f32_dpp v58, v128, v58 row_newbcast:14 row_mask:0xf bank_mask:0xf// 0000000047AC: 0A7474FA FF015E80
	v_mul_f32_dpp v59, v128, v59 row_newbcast:15 row_mask:0xf bank_mask:0xf// 0000000047B4: 0A7676FA FF015F80
	v_mov_b32_e32 v148, v28                                    // 0000000047BC: 7F28031C
	v_max3_f32 v148, v28, v29, v148                            // 0000000047C0: D1D30094 06523B1C
	v_max3_f32 v148, v30, v31, v148                            // 0000000047C8: D1D30094 06523F1E
	v_max3_f32 v148, v32, v33, v148                            // 0000000047D0: D1D30094 06524320
	v_max3_f32 v148, v34, v35, v148                            // 0000000047D8: D1D30094 06524722
	v_max3_f32 v148, v36, v37, v148                            // 0000000047E0: D1D30094 06524B24
	v_max3_f32 v148, v38, v39, v148                            // 0000000047E8: D1D30094 06524F26
	v_max3_f32 v148, v40, v41, v148                            // 0000000047F0: D1D30094 06525328
	v_max3_f32 v148, v42, v43, v148                            // 0000000047F8: D1D30094 0652572A
	v_mov_b32_e32 v149, v44                                    // 000000004800: 7F2A032C
	v_max3_f32 v149, v44, v45, v149                            // 000000004804: D1D30095 06565B2C
	v_max3_f32 v149, v46, v47, v149                            // 00000000480C: D1D30095 06565F2E
	v_max3_f32 v149, v48, v49, v149                            // 000000004814: D1D30095 06566330
	v_max3_f32 v149, v50, v51, v149                            // 00000000481C: D1D30095 06566732
	v_max3_f32 v149, v52, v53, v149                            // 000000004824: D1D30095 06566B34
	v_max3_f32 v149, v54, v55, v149                            // 00000000482C: D1D30095 06566F36
	v_max3_f32 v149, v56, v57, v149                            // 000000004834: D1D30095 06567338
	v_max3_f32 v149, v58, v59, v149                            // 00000000483C: D1D30095 0656773A
	ds_write_b64 v214, v[148:149]                              // 000000004844: D89A0000 000094D6
	v_pk_mul_f32 v[108:109], v[140:141], v[108:109]            // 00000000484C: D3B1406C 1802D98C
	v_pk_mul_f32 v[110:111], v[140:141], v[110:111]            // 000000004854: D3B1406E 1802DD8C
	v_pk_mul_f32 v[112:113], v[140:141], v[112:113]            // 00000000485C: D3B14070 1802E18C
	v_pk_mul_f32 v[114:115], v[140:141], v[114:115]            // 000000004864: D3B14072 1802E58C
	v_pk_mul_f32 v[116:117], v[142:143], v[116:117]            // 00000000486C: D3B14074 1802E98E
	v_pk_mul_f32 v[118:119], v[142:143], v[118:119]            // 000000004874: D3B14076 1802ED8E
	v_pk_mul_f32 v[120:121], v[142:143], v[120:121]            // 00000000487C: D3B14078 1802F18E
	v_pk_mul_f32 v[122:123], v[142:143], v[122:123]            // 000000004884: D3B1407A 1802F58E
	s_waitcnt lgkmcnt(0)                                       // 00000000488C: BF8CC07F
	s_barrier                                                  // 000000004890: BF8A0000
	ds_read_b64 v[152:153], v215                               // 000000004894: D8EC0000 980000D7
	ds_read_b64 v[154:155], v215 offset:128                    // 00000000489C: D8EC0080 9A0000D7
	ds_read_b64 v[156:157], v215 offset:256                    // 0000000048A4: D8EC0100 9C0000D7
	ds_read_b64 v[158:159], v215 offset:384                    // 0000000048AC: D8EC0180 9E0000D7
	ds_read_b64 v[160:161], v215 offset:512                    // 0000000048B4: D8EC0200 A00000D7
	ds_read_b64 v[162:163], v215 offset:640                    // 0000000048BC: D8EC0280 A20000D7
	ds_read_b64 v[164:165], v215 offset:768                    // 0000000048C4: D8EC0300 A40000D7
	ds_read_b64 v[166:167], v215 offset:896                    // 0000000048CC: D8EC0380 A60000D7
	ds_read_b64 v[168:169], v215 offset:1024                   // 0000000048D4: D8EC0400 A80000D7
	ds_read_b64 v[170:171], v215 offset:1152                   // 0000000048DC: D8EC0480 AA0000D7
	ds_read_b64 v[172:173], v215 offset:1280                   // 0000000048E4: D8EC0500 AC0000D7
	ds_read_b64 v[174:175], v215 offset:1408                   // 0000000048EC: D8EC0580 AE0000D7
	ds_read_b64 v[176:177], v215 offset:1536                   // 0000000048F4: D8EC0600 B00000D7
	ds_read_b64 v[178:179], v215 offset:1664                   // 0000000048FC: D8EC0680 B20000D7
	ds_read_b64 v[180:181], v215 offset:1792                   // 000000004904: D8EC0700 B40000D7
	ds_read_b64 v[182:183], v215 offset:1920                   // 00000000490C: D8EC0780 B60000D7
	v_pk_mul_f32 v[92:93], v[132:133], v[92:93]                // 000000004914: D3B1405C 1802B984
	v_pk_mul_f32 v[94:95], v[132:133], v[94:95]                // 00000000491C: D3B1405E 1802BD84
	v_pk_mul_f32 v[96:97], v[132:133], v[96:97]                // 000000004924: D3B14060 1802C184
	v_pk_mul_f32 v[98:99], v[132:133], v[98:99]                // 00000000492C: D3B14062 1802C584
	v_pk_mul_f32 v[100:101], v[134:135], v[100:101]            // 000000004934: D3B14064 1802C986
	v_pk_mul_f32 v[102:103], v[134:135], v[102:103]            // 00000000493C: D3B14066 1802CD86
	v_pk_mul_f32 v[104:105], v[134:135], v[104:105]            // 000000004944: D3B14068 1802D186
	v_pk_mul_f32 v[106:107], v[134:135], v[106:107]            // 00000000494C: D3B1406A 1802D586
	s_waitcnt lgkmcnt(0)                                       // 000000004954: BF8CC07F
	v_max3_f32 v148, v152, v154, v148                          // 000000004958: D1D30094 06533598
	v_max3_f32 v149, v153, v155, v149                          // 000000004960: D1D30095 06573799
	v_max3_f32 v148, v156, v158, v148                          // 000000004968: D1D30094 06533D9C
	v_max3_f32 v149, v157, v159, v149                          // 000000004970: D1D30095 06573F9D
	v_max3_f32 v148, v160, v162, v148                          // 000000004978: D1D30094 065345A0
	v_max3_f32 v149, v161, v163, v149                          // 000000004980: D1D30095 065747A1
	v_max3_f32 v148, v164, v166, v148                          // 000000004988: D1D30094 06534DA4
	v_max3_f32 v149, v165, v167, v149                          // 000000004990: D1D30095 06574FA5
	v_max3_f32 v148, v168, v170, v148                          // 000000004998: D1D30094 065355A8
	v_max3_f32 v149, v169, v171, v149                          // 0000000049A0: D1D30095 065757A9
	v_max3_f32 v148, v172, v174, v148                          // 0000000049A8: D1D30094 06535DAC
	v_max3_f32 v149, v173, v175, v149                          // 0000000049B0: D1D30095 06575FAD
	v_max3_f32 v148, v176, v178, v148                          // 0000000049B8: D1D30094 065365B0
	v_max3_f32 v149, v177, v179, v149                          // 0000000049C0: D1D30095 065767B1
	v_max3_f32 v148, v180, v182, v148                          // 0000000049C8: D1D30094 06536DB4
	v_max3_f32 v149, v181, v183, v149                          // 0000000049D0: D1D30095 06576FB5
	v_max_f32_e32 v138, v148, v136                             // 0000000049D8: 17151194
	v_mul_f32_e64 v184, -s51, v138                             // 0000000049DC: D10500B8 20031433
	v_mov_b32_e32 v185, v184                                   // 0000000049E4: 7F7203B8
	v_pk_fma_f32 v[28:29], v[28:29], s[68:69], v[184:185]      // 0000000049E8: D3B0401C 1EE0891C
	v_pk_fma_f32 v[30:31], v[30:31], s[68:69], v[184:185]      // 0000000049F0: D3B0401E 1EE0891E
	v_exp_f32_e32 v28, v28                                     // 0000000049F8: 7E38411C
	v_exp_f32_e32 v29, v29                                     // 0000000049FC: 7E3A411D
	v_exp_f32_e32 v30, v30                                     // 000000004A00: 7E3C411E
	v_exp_f32_e32 v31, v31                                     // 000000004A04: 7E3E411F
	v_pk_fma_f32 v[32:33], v[32:33], s[68:69], v[184:185]      // 000000004A08: D3B04020 1EE08920
	v_pk_fma_f32 v[34:35], v[34:35], s[68:69], v[184:185]      // 000000004A10: D3B04022 1EE08922
	v_exp_f32_e32 v32, v32                                     // 000000004A18: 7E404120
	v_exp_f32_e32 v33, v33                                     // 000000004A1C: 7E424121
	v_exp_f32_e32 v34, v34                                     // 000000004A20: 7E444122
	v_exp_f32_e32 v35, v35                                     // 000000004A24: 7E464123
	v_pk_fma_f32 v[36:37], v[36:37], s[68:69], v[184:185]      // 000000004A28: D3B04024 1EE08924
	v_pk_fma_f32 v[38:39], v[38:39], s[68:69], v[184:185]      // 000000004A30: D3B04026 1EE08926
	v_exp_f32_e32 v36, v36                                     // 000000004A38: 7E484124
	v_exp_f32_e32 v37, v37                                     // 000000004A3C: 7E4A4125
	v_exp_f32_e32 v38, v38                                     // 000000004A40: 7E4C4126
	v_exp_f32_e32 v39, v39                                     // 000000004A44: 7E4E4127
	v_pk_fma_f32 v[40:41], v[40:41], s[68:69], v[184:185]      // 000000004A48: D3B04028 1EE08928
	v_pk_fma_f32 v[42:43], v[42:43], s[68:69], v[184:185]      // 000000004A50: D3B0402A 1EE0892A
	v_exp_f32_e32 v40, v40                                     // 000000004A58: 7E504128
	v_exp_f32_e32 v41, v41                                     // 000000004A5C: 7E524129
	v_exp_f32_e32 v42, v42                                     // 000000004A60: 7E54412A
	v_exp_f32_e32 v43, v43                                     // 000000004A64: 7E56412B
	v_max_f32_e32 v139, v149, v137                             // 000000004A68: 17171395
	v_mul_f32_e64 v184, -s51, v139                             // 000000004A6C: D10500B8 20031633
	v_mov_b32_e32 v185, v184                                   // 000000004A74: 7F7203B8
	v_pk_fma_f32 v[44:45], v[44:45], s[68:69], v[184:185]      // 000000004A78: D3B0402C 1EE0892C
	v_pk_fma_f32 v[46:47], v[46:47], s[68:69], v[184:185]      // 000000004A80: D3B0402E 1EE0892E
	v_exp_f32_e32 v44, v44                                     // 000000004A88: 7E58412C
	v_exp_f32_e32 v45, v45                                     // 000000004A8C: 7E5A412D
	v_exp_f32_e32 v46, v46                                     // 000000004A90: 7E5C412E
	v_exp_f32_e32 v47, v47                                     // 000000004A94: 7E5E412F
	v_pk_fma_f32 v[48:49], v[48:49], s[68:69], v[184:185]      // 000000004A98: D3B04030 1EE08930
	v_pk_fma_f32 v[50:51], v[50:51], s[68:69], v[184:185]      // 000000004AA0: D3B04032 1EE08932
	v_exp_f32_e32 v48, v48                                     // 000000004AA8: 7E604130
	v_exp_f32_e32 v49, v49                                     // 000000004AAC: 7E624131
	v_exp_f32_e32 v50, v50                                     // 000000004AB0: 7E644132
	v_exp_f32_e32 v51, v51                                     // 000000004AB4: 7E664133
	v_pk_fma_f32 v[52:53], v[52:53], s[68:69], v[184:185]      // 000000004AB8: D3B04034 1EE08934
	v_pk_fma_f32 v[54:55], v[54:55], s[68:69], v[184:185]      // 000000004AC0: D3B04036 1EE08936
	v_exp_f32_e32 v52, v52                                     // 000000004AC8: 7E684134
	v_exp_f32_e32 v53, v53                                     // 000000004ACC: 7E6A4135
	v_exp_f32_e32 v54, v54                                     // 000000004AD0: 7E6C4136
	v_exp_f32_e32 v55, v55                                     // 000000004AD4: 7E6E4137
	v_pk_fma_f32 v[56:57], v[56:57], s[68:69], v[184:185]      // 000000004AD8: D3B04038 1EE08938
	v_pk_fma_f32 v[58:59], v[58:59], s[68:69], v[184:185]      // 000000004AE0: D3B0403A 1EE0893A
	v_exp_f32_e32 v56, v56                                     // 000000004AE8: 7E704138
	v_exp_f32_e32 v57, v57                                     // 000000004AEC: 7E724139
	v_exp_f32_e32 v58, v58                                     // 000000004AF0: 7E74413A
	v_exp_f32_e32 v59, v59                                     // 000000004AF4: 7E76413B
	v_mul_f32_dpp v60, v130, v28 row_newbcast:0 row_mask:0xf bank_mask:0xf// 000000004AF8: 0A7838FA FF015082
	v_mul_f32_dpp v61, v130, v29 row_newbcast:1 row_mask:0xf bank_mask:0xf// 000000004B00: 0A7A3AFA FF015182
	v_mul_f32_dpp v62, v130, v30 row_newbcast:2 row_mask:0xf bank_mask:0xf// 000000004B08: 0A7C3CFA FF015282
	v_mul_f32_dpp v63, v130, v31 row_newbcast:3 row_mask:0xf bank_mask:0xf// 000000004B10: 0A7E3EFA FF015382
	v_mul_f32_dpp v64, v130, v32 row_newbcast:4 row_mask:0xf bank_mask:0xf// 000000004B18: 0A8040FA FF015482
	v_mul_f32_dpp v65, v130, v33 row_newbcast:5 row_mask:0xf bank_mask:0xf// 000000004B20: 0A8242FA FF015582
	v_mul_f32_dpp v66, v130, v34 row_newbcast:6 row_mask:0xf bank_mask:0xf// 000000004B28: 0A8444FA FF015682
	v_mul_f32_dpp v67, v130, v35 row_newbcast:7 row_mask:0xf bank_mask:0xf// 000000004B30: 0A8646FA FF015782
	v_mul_f32_dpp v68, v130, v36 row_newbcast:8 row_mask:0xf bank_mask:0xf// 000000004B38: 0A8848FA FF015882
	v_mul_f32_dpp v69, v130, v37 row_newbcast:9 row_mask:0xf bank_mask:0xf// 000000004B40: 0A8A4AFA FF015982
	v_mul_f32_dpp v70, v130, v38 row_newbcast:10 row_mask:0xf bank_mask:0xf// 000000004B48: 0A8C4CFA FF015A82
	v_mul_f32_dpp v71, v130, v39 row_newbcast:11 row_mask:0xf bank_mask:0xf// 000000004B50: 0A8E4EFA FF015B82
	v_mul_f32_dpp v72, v130, v40 row_newbcast:12 row_mask:0xf bank_mask:0xf// 000000004B58: 0A9050FA FF015C82
	v_mul_f32_dpp v73, v130, v41 row_newbcast:13 row_mask:0xf bank_mask:0xf// 000000004B60: 0A9252FA FF015D82
	v_mul_f32_dpp v74, v130, v42 row_newbcast:14 row_mask:0xf bank_mask:0xf// 000000004B68: 0A9454FA FF015E82
	v_mul_f32_dpp v75, v130, v43 row_newbcast:15 row_mask:0xf bank_mask:0xf// 000000004B70: 0A9656FA FF015F82
	v_mul_f32_dpp v76, v130, v44 row_newbcast:0 row_mask:0xf bank_mask:0xf// 000000004B78: 0A9858FA FF015082
	v_mul_f32_dpp v77, v130, v45 row_newbcast:1 row_mask:0xf bank_mask:0xf// 000000004B80: 0A9A5AFA FF015182
	v_mul_f32_dpp v78, v130, v46 row_newbcast:2 row_mask:0xf bank_mask:0xf// 000000004B88: 0A9C5CFA FF015282
	v_mul_f32_dpp v79, v130, v47 row_newbcast:3 row_mask:0xf bank_mask:0xf// 000000004B90: 0A9E5EFA FF015382
	v_mul_f32_dpp v80, v130, v48 row_newbcast:4 row_mask:0xf bank_mask:0xf// 000000004B98: 0AA060FA FF015482
	v_mul_f32_dpp v81, v130, v49 row_newbcast:5 row_mask:0xf bank_mask:0xf// 000000004BA0: 0AA262FA FF015582
	v_mul_f32_dpp v82, v130, v50 row_newbcast:6 row_mask:0xf bank_mask:0xf// 000000004BA8: 0AA464FA FF015682
	v_mul_f32_dpp v83, v130, v51 row_newbcast:7 row_mask:0xf bank_mask:0xf// 000000004BB0: 0AA666FA FF015782
	v_mul_f32_dpp v84, v130, v52 row_newbcast:8 row_mask:0xf bank_mask:0xf// 000000004BB8: 0AA868FA FF015882
	v_mul_f32_dpp v85, v130, v53 row_newbcast:9 row_mask:0xf bank_mask:0xf// 000000004BC0: 0AAA6AFA FF015982
	v_mul_f32_dpp v86, v130, v54 row_newbcast:10 row_mask:0xf bank_mask:0xf// 000000004BC8: 0AAC6CFA FF015A82
	v_mul_f32_dpp v87, v130, v55 row_newbcast:11 row_mask:0xf bank_mask:0xf// 000000004BD0: 0AAE6EFA FF015B82
	v_mul_f32_dpp v88, v130, v56 row_newbcast:12 row_mask:0xf bank_mask:0xf// 000000004BD8: 0AB070FA FF015C82
	v_mul_f32_dpp v89, v130, v57 row_newbcast:13 row_mask:0xf bank_mask:0xf// 000000004BE0: 0AB272FA FF015D82
	v_mul_f32_dpp v90, v130, v58 row_newbcast:14 row_mask:0xf bank_mask:0xf// 000000004BE8: 0AB474FA FF015E82
	v_mul_f32_dpp v91, v130, v59 row_newbcast:15 row_mask:0xf bank_mask:0xf// 000000004BF0: 0AB676FA FF015F82
	v_mov_b32_e32 v148, 0x358637bd                             // 000000004BF8: 7F2802FF 358637BD
	v_max3_f32 v148, |v60|, |v61|, v148                        // 000000004C00: D1D30394 06527B3C
	v_max3_f32 v148, |v62|, |v63|, v148                        // 000000004C08: D1D30394 06527F3E
	v_max3_f32 v148, |v64|, |v65|, v148                        // 000000004C10: D1D30394 06528340
	v_max3_f32 v148, |v66|, |v67|, v148                        // 000000004C18: D1D30394 06528742
	v_max3_f32 v148, |v68|, |v69|, v148                        // 000000004C20: D1D30394 06528B44
	v_max3_f32 v148, |v70|, |v71|, v148                        // 000000004C28: D1D30394 06528F46
	v_max3_f32 v148, |v72|, |v73|, v148                        // 000000004C30: D1D30394 06529348
	v_max3_f32 v148, |v74|, |v75|, v148                        // 000000004C38: D1D30394 0652974A
	v_mov_b32_e32 v149, 0x358637bd                             // 000000004C40: 7F2A02FF 358637BD
	v_max3_f32 v149, |v76|, |v77|, v149                        // 000000004C48: D1D30395 06569B4C
	v_max3_f32 v149, |v78|, |v79|, v149                        // 000000004C50: D1D30395 06569F4E
	v_max3_f32 v149, |v80|, |v81|, v149                        // 000000004C58: D1D30395 0656A350
	v_max3_f32 v149, |v82|, |v83|, v149                        // 000000004C60: D1D30395 0656A752
	v_max3_f32 v149, |v84|, |v85|, v149                        // 000000004C68: D1D30395 0656AB54
	v_max3_f32 v149, |v86|, |v87|, v149                        // 000000004C70: D1D30395 0656AF56
	v_max3_f32 v149, |v88|, |v89|, v149                        // 000000004C78: D1D30395 0656B358
	v_max3_f32 v149, |v90|, |v91|, v149                        // 000000004C80: D1D30395 0656B75A
	ds_write_b64 v214, v[148:149] offset:2304                  // 000000004C88: D89A0900 000094D6
	buffer_load_dword v129, v206, s[28:31], 0 offen            // 000000004C90: E0501000 800781CE
	v_sub_f32_e32 v140, v136, v138                             // 000000004C98: 05191588
	v_cmp_eq_u32_e64 s[92:93], v195, v136                      // 000000004C9C: D0CA005C 000311C3
	s_nop 0                                                    // 000000004CA4: BF800000
	v_cndmask_b32_e64 v140, v140, 0, s[92:93]                  // 000000004CA8: D100008C 0171018C
	v_mov_b32_e32 v136, v138                                   // 000000004CB0: 7F10038A
	v_mul_f32_e32 v140, s51, v140                              // 000000004CB4: 0B191833
	v_exp_f32_e32 v140, v140                                   // 000000004CB8: 7F18418C
	v_sub_f32_e32 v142, v137, v139                             // 000000004CBC: 051D1789
	v_cmp_eq_u32_e64 s[92:93], v195, v137                      // 000000004CC0: D0CA005C 000313C3
	s_nop 0                                                    // 000000004CC8: BF800000
	v_cndmask_b32_e64 v142, v142, 0, s[92:93]                  // 000000004CCC: D100008E 0171018E
	v_mov_b32_e32 v137, v139                                   // 000000004CD4: 7F12038B
	v_mul_f32_e32 v142, s51, v142                              // 000000004CD8: 0B1D1C33
	v_exp_f32_e32 v142, v142                                   // 000000004CDC: 7F1C418E
	v_mov_b32_e32 v141, v140                                   // 000000004CE0: 7F1A038C
	v_mov_b32_e32 v143, v142                                   // 000000004CE4: 7F1E038E
	buffer_load_dword v131, v207, s[32:35], 0 offen            // 000000004CE8: E0501000 800883CF
	s_waitcnt lgkmcnt(0)                                       // 000000004CF0: BF8CC07F
	s_barrier                                                  // 000000004CF4: BF8A0000
	ds_read_b64 v[152:153], v215 offset:2304                   // 000000004CF8: D8EC0900 980000D7
	ds_read_b64 v[154:155], v215 offset:2432                   // 000000004D00: D8EC0980 9A0000D7
	ds_read_b64 v[156:157], v215 offset:2560                   // 000000004D08: D8EC0A00 9C0000D7
	ds_read_b64 v[158:159], v215 offset:2688                   // 000000004D10: D8EC0A80 9E0000D7
	ds_read_b64 v[160:161], v215 offset:2816                   // 000000004D18: D8EC0B00 A00000D7
	ds_read_b64 v[162:163], v215 offset:2944                   // 000000004D20: D8EC0B80 A20000D7
	ds_read_b64 v[164:165], v215 offset:3072                   // 000000004D28: D8EC0C00 A40000D7
	ds_read_b64 v[166:167], v215 offset:3200                   // 000000004D30: D8EC0C80 A60000D7
	ds_read_b64 v[168:169], v215 offset:3328                   // 000000004D38: D8EC0D00 A80000D7
	ds_read_b64 v[170:171], v215 offset:3456                   // 000000004D40: D8EC0D80 AA0000D7
	ds_read_b64 v[172:173], v215 offset:3584                   // 000000004D48: D8EC0E00 AC0000D7
	ds_read_b64 v[174:175], v215 offset:3712                   // 000000004D50: D8EC0E80 AE0000D7
	ds_read_b64 v[176:177], v215 offset:3840                   // 000000004D58: D8EC0F00 B00000D7
	ds_read_b64 v[178:179], v215 offset:3968                   // 000000004D60: D8EC0F80 B20000D7
	ds_read_b64 v[180:181], v215 offset:4096                   // 000000004D68: D8EC1000 B40000D7
	ds_read_b64 v[182:183], v215 offset:4224                   // 000000004D70: D8EC1080 B60000D7
	v_mul_f32_e32 v144, v140, v144                             // 000000004D78: 0B21218C
	v_add_f32_e32 v144, v28, v144                              // 000000004D7C: 0321211C
	v_add_f32_e32 v144, v29, v144                              // 000000004D80: 0321211D
	v_add_f32_e32 v144, v30, v144                              // 000000004D84: 0321211E
	v_add_f32_e32 v144, v31, v144                              // 000000004D88: 0321211F
	v_add_f32_e32 v144, v32, v144                              // 000000004D8C: 03212120
	v_add_f32_e32 v144, v33, v144                              // 000000004D90: 03212121
	v_add_f32_e32 v144, v34, v144                              // 000000004D94: 03212122
	v_add_f32_e32 v144, v35, v144                              // 000000004D98: 03212123
	v_add_f32_e32 v144, v36, v144                              // 000000004D9C: 03212124
	v_add_f32_e32 v144, v37, v144                              // 000000004DA0: 03212125
	v_add_f32_e32 v144, v38, v144                              // 000000004DA4: 03212126
	v_add_f32_e32 v144, v39, v144                              // 000000004DA8: 03212127
	v_add_f32_e32 v144, v40, v144                              // 000000004DAC: 03212128
	v_add_f32_e32 v144, v41, v144                              // 000000004DB0: 03212129
	v_add_f32_e32 v144, v42, v144                              // 000000004DB4: 0321212A
	v_add_f32_e32 v144, v43, v144                              // 000000004DB8: 0321212B
	v_mul_f32_e32 v145, v142, v145                             // 000000004DBC: 0B23238E
	v_add_f32_e32 v145, v44, v145                              // 000000004DC0: 0323232C
	v_add_f32_e32 v145, v45, v145                              // 000000004DC4: 0323232D
	v_add_f32_e32 v145, v46, v145                              // 000000004DC8: 0323232E
	v_add_f32_e32 v145, v47, v145                              // 000000004DCC: 0323232F
	v_add_f32_e32 v145, v48, v145                              // 000000004DD0: 03232330
	v_add_f32_e32 v145, v49, v145                              // 000000004DD4: 03232331
	v_add_f32_e32 v145, v50, v145                              // 000000004DD8: 03232332
	v_add_f32_e32 v145, v51, v145                              // 000000004DDC: 03232333
	v_add_f32_e32 v145, v52, v145                              // 000000004DE0: 03232334
	v_add_f32_e32 v145, v53, v145                              // 000000004DE4: 03232335
	v_add_f32_e32 v145, v54, v145                              // 000000004DE8: 03232336
	v_add_f32_e32 v145, v55, v145                              // 000000004DEC: 03232337
	v_add_f32_e32 v145, v56, v145                              // 000000004DF0: 03232338
	v_add_f32_e32 v145, v57, v145                              // 000000004DF4: 03232339
	v_add_f32_e32 v145, v58, v145                              // 000000004DF8: 0323233A
	v_add_f32_e32 v145, v59, v145                              // 000000004DFC: 0323233B
	s_waitcnt lgkmcnt(0)                                       // 000000004E00: BF8CC07F
	v_max3_f32 v148, v152, v154, v148                          // 000000004E04: D1D30094 06533598
	v_max3_f32 v149, v153, v155, v149                          // 000000004E0C: D1D30095 06573799
	v_max3_f32 v148, v156, v158, v148                          // 000000004E14: D1D30094 06533D9C
	v_max3_f32 v149, v157, v159, v149                          // 000000004E1C: D1D30095 06573F9D
	v_max3_f32 v148, v160, v162, v148                          // 000000004E24: D1D30094 065345A0
	v_max3_f32 v149, v161, v163, v149                          // 000000004E2C: D1D30095 065747A1
	v_max3_f32 v148, v164, v166, v148                          // 000000004E34: D1D30094 06534DA4
	v_max3_f32 v149, v165, v167, v149                          // 000000004E3C: D1D30095 06574FA5
	v_max3_f32 v148, v168, v170, v148                          // 000000004E44: D1D30094 065355A8
	v_max3_f32 v149, v169, v171, v149                          // 000000004E4C: D1D30095 065757A9
	v_max3_f32 v148, v172, v174, v148                          // 000000004E54: D1D30094 06535DAC
	v_max3_f32 v149, v173, v175, v149                          // 000000004E5C: D1D30095 06575FAD
	v_max3_f32 v148, v176, v178, v148                          // 000000004E64: D1D30094 065365B0
	v_max3_f32 v149, v177, v179, v149                          // 000000004E6C: D1D30095 065767B1
	v_max3_f32 v148, v180, v182, v148                          // 000000004E74: D1D30094 06536DB4
	v_max3_f32 v149, v181, v183, v149                          // 000000004E7C: D1D30095 06576FB5
	v_rcp_f32_e32 v148, v148                                   // 000000004E84: 7F284594
	v_rcp_f32_e32 v149, v149                                   // 000000004E88: 7F2A4595
	v_mul_f32_e32 v148, 0x43700000, v148                       // 000000004E8C: 0B2928FF 43700000
	v_mul_f32_e32 v149, 0x43700000, v149                       // 000000004E94: 0B2B2AFF 43700000
	v_mov_b32_e32 v150, v149                                   // 000000004E9C: 7F2C0395
	v_mov_b32_e32 v151, v149                                   // 000000004EA0: 7F2E0395
	v_mov_b32_e32 v149, v148                                   // 000000004EA4: 7F2A0394
	v_pk_mul_f32 v[28:29], v[148:149], v[60:61]                // 000000004EA8: D3B1401C 18027994
	v_pk_mul_f32 v[30:31], v[148:149], v[62:63]                // 000000004EB0: D3B1401E 18027D94
	v_pk_mul_f32 v[32:33], v[148:149], v[64:65]                // 000000004EB8: D3B14020 18028194
	v_pk_mul_f32 v[34:35], v[148:149], v[66:67]                // 000000004EC0: D3B14022 18028594
	v_pk_mul_f32 v[36:37], v[148:149], v[68:69]                // 000000004EC8: D3B14024 18028994
	v_pk_mul_f32 v[38:39], v[148:149], v[70:71]                // 000000004ED0: D3B14026 18028D94
	v_pk_mul_f32 v[40:41], v[148:149], v[72:73]                // 000000004ED8: D3B14028 18029194
	v_pk_mul_f32 v[42:43], v[148:149], v[74:75]                // 000000004EE0: D3B1402A 18029594
	v_pk_mul_f32 v[44:45], v[150:151], v[76:77]                // 000000004EE8: D3B1402C 18029996
	v_pk_mul_f32 v[46:47], v[150:151], v[78:79]                // 000000004EF0: D3B1402E 18029D96
	v_pk_mul_f32 v[48:49], v[150:151], v[80:81]                // 000000004EF8: D3B14030 1802A196
	v_pk_mul_f32 v[50:51], v[150:151], v[82:83]                // 000000004F00: D3B14032 1802A596
	v_pk_mul_f32 v[52:53], v[150:151], v[84:85]                // 000000004F08: D3B14034 1802A996
	v_pk_mul_f32 v[54:55], v[150:151], v[86:87]                // 000000004F10: D3B14036 1802AD96
	v_pk_mul_f32 v[56:57], v[150:151], v[88:89]                // 000000004F18: D3B14038 1802B196
	v_pk_mul_f32 v[58:59], v[150:151], v[90:91]                // 000000004F20: D3B1403A 1802B596
	v_cvt_pk_fp8_f32 v28, v28, v29                             // 000000004F28: D2A2001C 00023B1C
	v_cvt_pk_fp8_f32 v28, v30, v31 op_sel:[0,0,1]              // 000000004F30: D2A2401C 00023F1E
	v_cvt_pk_fp8_f32 v29, v32, v33                             // 000000004F38: D2A2001D 00024320
	v_cvt_pk_fp8_f32 v29, v34, v35 op_sel:[0,0,1]              // 000000004F40: D2A2401D 00024722
	v_cvt_pk_fp8_f32 v30, v36, v37                             // 000000004F48: D2A2001E 00024B24
	v_cvt_pk_fp8_f32 v30, v38, v39 op_sel:[0,0,1]              // 000000004F50: D2A2401E 00024F26
	v_cvt_pk_fp8_f32 v31, v40, v41                             // 000000004F58: D2A2001F 00025328
	v_cvt_pk_fp8_f32 v31, v42, v43 op_sel:[0,0,1]              // 000000004F60: D2A2401F 0002572A
	v_cvt_pk_fp8_f32 v32, v44, v45                             // 000000004F68: D2A20020 00025B2C
	v_cvt_pk_fp8_f32 v32, v46, v47 op_sel:[0,0,1]              // 000000004F70: D2A24020 00025F2E
	v_cvt_pk_fp8_f32 v33, v48, v49                             // 000000004F78: D2A20021 00026330
	v_cvt_pk_fp8_f32 v33, v50, v51 op_sel:[0,0,1]              // 000000004F80: D2A24021 00026732
	v_cvt_pk_fp8_f32 v34, v52, v53                             // 000000004F88: D2A20022 00026B34
	v_cvt_pk_fp8_f32 v34, v54, v55 op_sel:[0,0,1]              // 000000004F90: D2A24022 00026F36
	v_cvt_pk_fp8_f32 v35, v56, v57                             // 000000004F98: D2A20023 00027338
	v_cvt_pk_fp8_f32 v35, v58, v59 op_sel:[0,0,1]              // 000000004FA0: D2A24023 0002773A
	ds_write_b32 v216, v28 offset:4608                         // 000000004FA8: D81A1200 00001CD8
	ds_write_b32 v216, v29 offset:5632                         // 000000004FB0: D81A1600 00001DD8
	ds_write_b32 v216, v30 offset:6656                         // 000000004FB8: D81A1A00 00001ED8
	ds_write_b32 v216, v31 offset:7680                         // 000000004FC0: D81A1E00 00001FD8
	ds_write_b32 v216, v32 offset:8704                         // 000000004FC8: D81A2200 000020D8
	ds_write_b32 v216, v33 offset:9728                         // 000000004FD0: D81A2600 000021D8
	ds_write_b32 v216, v34 offset:10752                        // 000000004FD8: D81A2A00 000022D8
	ds_write_b32 v216, v35 offset:11776                        // 000000004FE0: D81A2E00 000023D8
	v_rcp_f32_e32 v132, v148                                   // 000000004FE8: 7F084594
	v_rcp_f32_e32 v134, v150                                   // 000000004FEC: 7F0C4596
	v_mov_b32_e32 v133, v132                                   // 000000004FF0: 7F0A0384
	v_mov_b32_e32 v135, v134                                   // 000000004FF4: 7F0E0386
	v_pk_add_f32 v[108:109], v[108:109], v[92:93]              // 000000004FF8: D3B2406C 1802B96C
	v_pk_add_f32 v[110:111], v[110:111], v[94:95]              // 000000005000: D3B2406E 1802BD6E
	v_pk_add_f32 v[112:113], v[112:113], v[96:97]              // 000000005008: D3B24070 1802C170
	v_pk_add_f32 v[114:115], v[114:115], v[98:99]              // 000000005010: D3B24072 1802C572
	v_pk_add_f32 v[116:117], v[116:117], v[100:101]            // 000000005018: D3B24074 1802C974
	v_pk_add_f32 v[118:119], v[118:119], v[102:103]            // 000000005020: D3B24076 1802CD76
	v_pk_add_f32 v[120:121], v[120:121], v[104:105]            // 000000005028: D3B24078 1802D178
	v_pk_add_f32 v[122:123], v[122:123], v[106:107]            // 000000005030: D3B2407A 1802D57A
	s_waitcnt lgkmcnt(0)                                       // 000000005038: BF8CC07F
	s_barrier                                                  // 00000000503C: BF8A0000
	ds_read_b128 v[28:31], v217 offset:4608                    // 000000005040: D9FE1200 1C0000D9
	ds_read_b128 v[32:35], v217 offset:5632                    // 000000005048: D9FE1600 200000D9
	ds_read_b128 v[36:39], v217 offset:6656                    // 000000005050: D9FE1A00 240000D9
	ds_read_b128 v[40:43], v217 offset:7680                    // 000000005058: D9FE1E00 280000D9
	ds_read_b128 v[44:47], v217 offset:8704                    // 000000005060: D9FE2200 2C0000D9
	ds_read_b128 v[48:51], v217 offset:9728                    // 000000005068: D9FE2600 300000D9
	ds_read_b128 v[52:55], v217 offset:10752                   // 000000005070: D9FE2A00 340000D9
	ds_read_b128 v[56:59], v217 offset:11776                   // 000000005078: D9FE2E00 380000D9
	s_waitcnt vmcnt(10)                                        // 000000005080: BF8C0F7A
	s_waitcnt lgkmcnt(7)                                       // 000000005084: BF8CC77F
	v_mfma_f32_16x16x32_fp8_fp8 v[92:95], a[64:65], v[28:29], 0// 000000005088: D3F3005C 0A023940
	v_mfma_f32_16x16x32_fp8_fp8 v[96:99], a[80:81], v[28:29], 0// 000000005090: D3F30060 0A023950
	v_mfma_f32_16x16x32_fp8_fp8 v[92:95], a[66:67], v[30:31], v[92:95]// 000000005098: D3F3005C 0D723D42
	buffer_load_dwordx4 a[96:99], v202, s[16:19], 0 offen      // 0000000050A0: E05C1000 808460CA
	v_mfma_f32_16x16x32_fp8_fp8 v[96:99], a[82:83], v[30:31], v[96:99]// 0000000050A8: D3F30060 0D823D52
	s_waitcnt lgkmcnt(6)                                       // 0000000050B0: BF8CC67F
	v_mfma_f32_16x16x32_fp8_fp8 v[92:95], a[68:69], v[32:33], v[92:95]// 0000000050B4: D3F3005C 0D724144
	v_mfma_f32_16x16x32_fp8_fp8 v[96:99], a[84:85], v[32:33], v[96:99]// 0000000050BC: D3F30060 0D824154
	v_mfma_f32_16x16x32_fp8_fp8 v[92:95], a[70:71], v[34:35], v[92:95]// 0000000050C4: D3F3005C 0D724546
	buffer_load_dwordx4 a[100:103], v203, s[16:19], 0 offen    // 0000000050CC: E05C1000 808464CB
	v_mfma_f32_16x16x32_fp8_fp8 v[96:99], a[86:87], v[34:35], v[96:99]// 0000000050D4: D3F30060 0D824556
	s_waitcnt lgkmcnt(5)                                       // 0000000050DC: BF8CC57F
	v_mfma_f32_16x16x32_fp8_fp8 v[92:95], a[72:73], v[36:37], v[92:95]// 0000000050E0: D3F3005C 0D724948
	v_mfma_f32_16x16x32_fp8_fp8 v[96:99], a[88:89], v[36:37], v[96:99]// 0000000050E8: D3F30060 0D824958
	v_mfma_f32_16x16x32_fp8_fp8 v[92:95], a[74:75], v[38:39], v[92:95]// 0000000050F0: D3F3005C 0D724D4A
	buffer_load_dwordx4 a[104:107], v204, s[16:19], 0 offen    // 0000000050F8: E05C1000 808468CC
	v_mfma_f32_16x16x32_fp8_fp8 v[96:99], a[90:91], v[38:39], v[96:99]// 000000005100: D3F30060 0D824D5A
	s_waitcnt lgkmcnt(4)                                       // 000000005108: BF8CC47F
	v_mfma_f32_16x16x32_fp8_fp8 v[92:95], a[76:77], v[40:41], v[92:95]// 00000000510C: D3F3005C 0D72514C
	v_mfma_f32_16x16x32_fp8_fp8 v[96:99], a[92:93], v[40:41], v[96:99]// 000000005114: D3F30060 0D82515C
	v_mfma_f32_16x16x32_fp8_fp8 v[92:95], a[78:79], v[42:43], v[92:95]// 00000000511C: D3F3005C 0D72554E
	buffer_load_dwordx4 a[108:111], v205, s[16:19], 0 offen    // 000000005124: E05C1000 80846CCD
	v_mfma_f32_16x16x32_fp8_fp8 v[96:99], a[94:95], v[42:43], v[96:99]// 00000000512C: D3F30060 0D82555E
	s_waitcnt lgkmcnt(3)                                       // 000000005134: BF8CC37F
	v_mfma_f32_16x16x32_fp8_fp8 v[100:103], a[64:65], v[44:45], 0// 000000005138: D3F30064 0A025940
	v_mfma_f32_16x16x32_fp8_fp8 v[104:107], a[80:81], v[44:45], 0// 000000005140: D3F30068 0A025950
	v_mfma_f32_16x16x32_fp8_fp8 v[100:103], a[66:67], v[46:47], v[100:103]// 000000005148: D3F30064 0D925D42
	buffer_load_dwordx4 a[112:115], v202, s[16:19], 0 offen offset:1024// 000000005150: E05C1400 808470CA
	v_mfma_f32_16x16x32_fp8_fp8 v[104:107], a[82:83], v[46:47], v[104:107]// 000000005158: D3F30068 0DA25D52
	s_waitcnt lgkmcnt(2)                                       // 000000005160: BF8CC27F
	v_mfma_f32_16x16x32_fp8_fp8 v[100:103], a[68:69], v[48:49], v[100:103]// 000000005164: D3F30064 0D926144
	v_mfma_f32_16x16x32_fp8_fp8 v[104:107], a[84:85], v[48:49], v[104:107]// 00000000516C: D3F30068 0DA26154
	v_mfma_f32_16x16x32_fp8_fp8 v[100:103], a[70:71], v[50:51], v[100:103]// 000000005174: D3F30064 0D926546
	buffer_load_dwordx4 a[116:119], v203, s[16:19], 0 offen offset:1024// 00000000517C: E05C1400 808474CB
	v_mfma_f32_16x16x32_fp8_fp8 v[104:107], a[86:87], v[50:51], v[104:107]// 000000005184: D3F30068 0DA26556
	s_waitcnt lgkmcnt(1)                                       // 00000000518C: BF8CC17F
	v_mfma_f32_16x16x32_fp8_fp8 v[100:103], a[72:73], v[52:53], v[100:103]// 000000005190: D3F30064 0D926948
	v_mfma_f32_16x16x32_fp8_fp8 v[104:107], a[88:89], v[52:53], v[104:107]// 000000005198: D3F30068 0DA26958
	v_mfma_f32_16x16x32_fp8_fp8 v[100:103], a[74:75], v[54:55], v[100:103]// 0000000051A0: D3F30064 0D926D4A
	buffer_load_dwordx4 a[120:123], v204, s[16:19], 0 offen offset:1024// 0000000051A8: E05C1400 808478CC
	v_mfma_f32_16x16x32_fp8_fp8 v[104:107], a[90:91], v[54:55], v[104:107]// 0000000051B0: D3F30068 0DA26D5A
	s_waitcnt lgkmcnt(0)                                       // 0000000051B8: BF8CC07F
	v_mfma_f32_16x16x32_fp8_fp8 v[100:103], a[76:77], v[56:57], v[100:103]// 0000000051BC: D3F30064 0D92714C
	v_mfma_f32_16x16x32_fp8_fp8 v[104:107], a[92:93], v[56:57], v[104:107]// 0000000051C4: D3F30068 0DA2715C
	v_mfma_f32_16x16x32_fp8_fp8 v[100:103], a[78:79], v[58:59], v[100:103]// 0000000051CC: D3F30064 0D92754E
	buffer_load_dwordx4 a[124:127], v205, s[16:19], 0 offen offset:1024// 0000000051D4: E05C1400 80847CCD
	v_mfma_f32_16x16x32_fp8_fp8 v[104:107], a[94:95], v[58:59], v[104:107]// 0000000051DC: D3F30068 0DA2755E
	s_addk_i32 s49, 0x100                                      // 0000000051E4: B7310100
	s_cmp_lt_i32 s49, s50                                      // 0000000051E8: BF043231
	s_cbranch_scc0 label_2934                                  // 0000000051EC: BF841CF8
	s_waitcnt vmcnt(10)                                        // 0000000051F0: BF8C0F7A
	v_mfma_f32_16x16x32_fp8_fp8 v[28:31], a[32:33], v[12:13], 0// 0000000051F4: D3F3001C 0A021920
	s_add_u32 s12, s84, s64                                    // 0000000051FC: 800C4054
	s_addc_u32 s13, s85, 0                                     // 000000005200: 820D8055
	v_mfma_f32_16x16x32_fp8_fp8 v[28:31], a[34:35], v[14:15], v[28:31]// 000000005204: D3F3001C 0C721D22
	s_add_u32 s16, s86, s65                                    // 00000000520C: 80104156
	s_addc_u32 s17, s87, 0                                     // 000000005210: 82118057
	v_mfma_f32_16x16x32_fp8_fp8 v[28:31], a[36:37], v[16:17], v[28:31]// 000000005214: D3F3001C 0C722124
	buffer_load_dwordx4 a[0:3], v200, s[12:15], 0 offen        // 00000000521C: E05C1000 808300C8
	v_mfma_f32_16x16x32_fp8_fp8 v[28:31], a[38:39], v[18:19], v[28:31]// 000000005224: D3F3001C 0C722526
	s_add_u32 s28, s88, s66                                    // 00000000522C: 801C4258
	s_addc_u32 s29, s89, 0                                     // 000000005230: 821D8059
	v_mfma_f32_16x16x32_fp8_fp8 v[32:35], a[40:41], v[12:13], 0// 000000005234: D3F30020 0A021928
	s_add_u32 s32, s90, s66                                    // 00000000523C: 8020425A
	s_addc_u32 s33, s91, 0                                     // 000000005240: 8221805B
	v_mfma_f32_16x16x32_fp8_fp8 v[32:35], a[42:43], v[14:15], v[32:35]// 000000005244: D3F30020 0C821D2A
	s_add_u32 s64, s64, 0x1000                                 // 00000000524C: 8040FF40 00001000
	s_add_u32 s65, s65, 0x8000                                 // 000000005254: 8041FF41 00008000
	v_mfma_f32_16x16x32_fp8_fp8 v[32:35], a[44:45], v[16:17], v[32:35]// 00000000525C: D3F30020 0C82212C
	buffer_load_dwordx4 a[4:7], v201, s[12:15], 0 offen        // 000000005264: E05C1000 808304C9
	v_mfma_f32_16x16x32_fp8_fp8 v[32:35], a[46:47], v[18:19], v[32:35]// 00000000526C: D3F30020 0C82252E
	s_add_u32 s66, s66, 0x400                                  // 000000005274: 8042FF42 00000400
	v_mfma_f32_16x16x32_fp8_fp8 v[36:39], a[48:49], v[12:13], 0// 00000000527C: D3F30024 0A021930
	v_mfma_f32_16x16x32_fp8_fp8 v[36:39], a[50:51], v[14:15], v[36:39]// 000000005284: D3F30024 0C921D32
	v_mfma_f32_16x16x32_fp8_fp8 v[36:39], a[52:53], v[16:17], v[36:39]// 00000000528C: D3F30024 0C922134
	buffer_load_dwordx4 a[8:11], v200, s[12:15], 0 offen offset:1024// 000000005294: E05C1400 808308C8
	v_mfma_f32_16x16x32_fp8_fp8 v[36:39], a[54:55], v[18:19], v[36:39]// 00000000529C: D3F30024 0C922536
	v_mfma_f32_16x16x32_fp8_fp8 v[40:43], a[56:57], v[12:13], 0// 0000000052A4: D3F30028 0A021938
	v_mfma_f32_16x16x32_fp8_fp8 v[40:43], a[58:59], v[14:15], v[40:43]// 0000000052AC: D3F30028 0CA21D3A
	v_mfma_f32_16x16x32_fp8_fp8 v[40:43], a[60:61], v[16:17], v[40:43]// 0000000052B4: D3F30028 0CA2213C
	buffer_load_dwordx4 a[12:15], v201, s[12:15], 0 offen offset:1024// 0000000052BC: E05C1400 80830CC9
	v_mfma_f32_16x16x32_fp8_fp8 v[40:43], a[62:63], v[18:19], v[40:43]// 0000000052C4: D3F30028 0CA2253E
	v_mfma_f32_16x16x32_fp8_fp8 v[44:47], a[32:33], v[20:21], 0// 0000000052CC: D3F3002C 0A022920
	v_mfma_f32_16x16x32_fp8_fp8 v[44:47], a[34:35], v[22:23], v[44:47]// 0000000052D4: D3F3002C 0CB22D22
	v_mfma_f32_16x16x32_fp8_fp8 v[44:47], a[36:37], v[24:25], v[44:47]// 0000000052DC: D3F3002C 0CB23124
	buffer_load_dwordx4 a[16:19], v200, s[12:15], 0 offen offset:2048// 0000000052E4: E05C1800 808310C8
	v_mfma_f32_16x16x32_fp8_fp8 v[44:47], a[38:39], v[26:27], v[44:47]// 0000000052EC: D3F3002C 0CB23526
	v_mfma_f32_16x16x32_fp8_fp8 v[48:51], a[40:41], v[20:21], 0// 0000000052F4: D3F30030 0A022928
	v_mfma_f32_16x16x32_fp8_fp8 v[48:51], a[42:43], v[22:23], v[48:51]// 0000000052FC: D3F30030 0CC22D2A
	v_mfma_f32_16x16x32_fp8_fp8 v[48:51], a[44:45], v[24:25], v[48:51]// 000000005304: D3F30030 0CC2312C
	buffer_load_dwordx4 a[20:23], v201, s[12:15], 0 offen offset:2048// 00000000530C: E05C1800 808314C9
	v_mfma_f32_16x16x32_fp8_fp8 v[48:51], a[46:47], v[26:27], v[48:51]// 000000005314: D3F30030 0CC2352E
	v_mfma_f32_16x16x32_fp8_fp8 v[52:55], a[48:49], v[20:21], 0// 00000000531C: D3F30034 0A022930
	v_mfma_f32_16x16x32_fp8_fp8 v[52:55], a[50:51], v[22:23], v[52:55]// 000000005324: D3F30034 0CD22D32
	v_mfma_f32_16x16x32_fp8_fp8 v[52:55], a[52:53], v[24:25], v[52:55]// 00000000532C: D3F30034 0CD23134
	buffer_load_dwordx4 a[24:27], v200, s[12:15], 0 offen offset:3072// 000000005334: E05C1C00 808318C8
	v_mfma_f32_16x16x32_fp8_fp8 v[52:55], a[54:55], v[26:27], v[52:55]// 00000000533C: D3F30034 0CD23536
	v_mfma_f32_16x16x32_fp8_fp8 v[56:59], a[56:57], v[20:21], 0// 000000005344: D3F30038 0A022938
	v_mfma_f32_16x16x32_fp8_fp8 v[56:59], a[58:59], v[22:23], v[56:59]// 00000000534C: D3F30038 0CE22D3A
	v_mfma_f32_16x16x32_fp8_fp8 v[56:59], a[60:61], v[24:25], v[56:59]// 000000005354: D3F30038 0CE2313C
	buffer_load_dwordx4 a[28:31], v201, s[12:15], 0 offen offset:3072// 00000000535C: E05C1C00 80831CC9
	v_mfma_f32_16x16x32_fp8_fp8 v[56:59], a[62:63], v[26:27], v[56:59]// 000000005364: D3F30038 0CE2353E
	s_waitcnt vmcnt(16)                                        // 00000000536C: BF8C4F70
	v_pk_mul_f32 v[28:29], v[124:125], v[28:29]                // 000000005370: D3B1401C 1802397C
	v_pk_mul_f32 v[30:31], v[124:125], v[30:31]                // 000000005378: D3B1401E 18023D7C
	v_mul_f32_dpp v28, v129, v28 row_newbcast:0 row_mask:0xf bank_mask:0xf// 000000005380: 0A3838FA FF015081
	v_mul_f32_dpp v29, v129, v29 row_newbcast:1 row_mask:0xf bank_mask:0xf// 000000005388: 0A3A3AFA FF015181
	v_mul_f32_dpp v30, v129, v30 row_newbcast:2 row_mask:0xf bank_mask:0xf// 000000005390: 0A3C3CFA FF015281
	v_mul_f32_dpp v31, v129, v31 row_newbcast:3 row_mask:0xf bank_mask:0xf// 000000005398: 0A3E3EFA FF015381
	v_pk_mul_f32 v[32:33], v[124:125], v[32:33]                // 0000000053A0: D3B14020 1802417C
	v_pk_mul_f32 v[34:35], v[124:125], v[34:35]                // 0000000053A8: D3B14022 1802457C
	v_mul_f32_dpp v32, v129, v32 row_newbcast:4 row_mask:0xf bank_mask:0xf// 0000000053B0: 0A4040FA FF015481
	v_mul_f32_dpp v33, v129, v33 row_newbcast:5 row_mask:0xf bank_mask:0xf// 0000000053B8: 0A4242FA FF015581
	v_mul_f32_dpp v34, v129, v34 row_newbcast:6 row_mask:0xf bank_mask:0xf// 0000000053C0: 0A4444FA FF015681
	v_mul_f32_dpp v35, v129, v35 row_newbcast:7 row_mask:0xf bank_mask:0xf// 0000000053C8: 0A4646FA FF015781
	v_pk_mul_f32 v[36:37], v[124:125], v[36:37]                // 0000000053D0: D3B14024 1802497C
	v_pk_mul_f32 v[38:39], v[124:125], v[38:39]                // 0000000053D8: D3B14026 18024D7C
	v_mul_f32_dpp v36, v129, v36 row_newbcast:8 row_mask:0xf bank_mask:0xf// 0000000053E0: 0A4848FA FF015881
	v_mul_f32_dpp v37, v129, v37 row_newbcast:9 row_mask:0xf bank_mask:0xf// 0000000053E8: 0A4A4AFA FF015981
	v_mul_f32_dpp v38, v129, v38 row_newbcast:10 row_mask:0xf bank_mask:0xf// 0000000053F0: 0A4C4CFA FF015A81
	v_mul_f32_dpp v39, v129, v39 row_newbcast:11 row_mask:0xf bank_mask:0xf// 0000000053F8: 0A4E4EFA FF015B81
	v_pk_mul_f32 v[40:41], v[124:125], v[40:41]                // 000000005400: D3B14028 1802517C
	v_pk_mul_f32 v[42:43], v[124:125], v[42:43]                // 000000005408: D3B1402A 1802557C
	v_mul_f32_dpp v40, v129, v40 row_newbcast:12 row_mask:0xf bank_mask:0xf// 000000005410: 0A5050FA FF015C81
	v_mul_f32_dpp v41, v129, v41 row_newbcast:13 row_mask:0xf bank_mask:0xf// 000000005418: 0A5252FA FF015D81
	v_mul_f32_dpp v42, v129, v42 row_newbcast:14 row_mask:0xf bank_mask:0xf// 000000005420: 0A5454FA FF015E81
	v_mul_f32_dpp v43, v129, v43 row_newbcast:15 row_mask:0xf bank_mask:0xf// 000000005428: 0A5656FA FF015F81
	v_pk_mul_f32 v[44:45], v[126:127], v[44:45]                // 000000005430: D3B1402C 1802597E
	v_pk_mul_f32 v[46:47], v[126:127], v[46:47]                // 000000005438: D3B1402E 18025D7E
	v_mul_f32_dpp v44, v129, v44 row_newbcast:0 row_mask:0xf bank_mask:0xf// 000000005440: 0A5858FA FF015081
	v_mul_f32_dpp v45, v129, v45 row_newbcast:1 row_mask:0xf bank_mask:0xf// 000000005448: 0A5A5AFA FF015181
	v_mul_f32_dpp v46, v129, v46 row_newbcast:2 row_mask:0xf bank_mask:0xf// 000000005450: 0A5C5CFA FF015281
	v_mul_f32_dpp v47, v129, v47 row_newbcast:3 row_mask:0xf bank_mask:0xf// 000000005458: 0A5E5EFA FF015381
	v_pk_mul_f32 v[48:49], v[126:127], v[48:49]                // 000000005460: D3B14030 1802617E
	v_pk_mul_f32 v[50:51], v[126:127], v[50:51]                // 000000005468: D3B14032 1802657E
	v_mul_f32_dpp v48, v129, v48 row_newbcast:4 row_mask:0xf bank_mask:0xf// 000000005470: 0A6060FA FF015481
	v_mul_f32_dpp v49, v129, v49 row_newbcast:5 row_mask:0xf bank_mask:0xf// 000000005478: 0A6262FA FF015581
	v_mul_f32_dpp v50, v129, v50 row_newbcast:6 row_mask:0xf bank_mask:0xf// 000000005480: 0A6464FA FF015681
	v_mul_f32_dpp v51, v129, v51 row_newbcast:7 row_mask:0xf bank_mask:0xf// 000000005488: 0A6666FA FF015781
	v_pk_mul_f32 v[52:53], v[126:127], v[52:53]                // 000000005490: D3B14034 1802697E
	v_pk_mul_f32 v[54:55], v[126:127], v[54:55]                // 000000005498: D3B14036 18026D7E
	v_mul_f32_dpp v52, v129, v52 row_newbcast:8 row_mask:0xf bank_mask:0xf// 0000000054A0: 0A6868FA FF015881
	v_mul_f32_dpp v53, v129, v53 row_newbcast:9 row_mask:0xf bank_mask:0xf// 0000000054A8: 0A6A6AFA FF015981
	v_mul_f32_dpp v54, v129, v54 row_newbcast:10 row_mask:0xf bank_mask:0xf// 0000000054B0: 0A6C6CFA FF015A81
	v_mul_f32_dpp v55, v129, v55 row_newbcast:11 row_mask:0xf bank_mask:0xf// 0000000054B8: 0A6E6EFA FF015B81
	v_pk_mul_f32 v[56:57], v[126:127], v[56:57]                // 0000000054C0: D3B14038 1802717E
	v_pk_mul_f32 v[58:59], v[126:127], v[58:59]                // 0000000054C8: D3B1403A 1802757E
	v_mul_f32_dpp v56, v129, v56 row_newbcast:12 row_mask:0xf bank_mask:0xf// 0000000054D0: 0A7070FA FF015C81
	v_mul_f32_dpp v57, v129, v57 row_newbcast:13 row_mask:0xf bank_mask:0xf// 0000000054D8: 0A7272FA FF015D81
	v_mul_f32_dpp v58, v129, v58 row_newbcast:14 row_mask:0xf bank_mask:0xf// 0000000054E0: 0A7474FA FF015E81
	v_mul_f32_dpp v59, v129, v59 row_newbcast:15 row_mask:0xf bank_mask:0xf// 0000000054E8: 0A7676FA FF015F81
	v_mov_b32_e32 v148, v28                                    // 0000000054F0: 7F28031C
	v_max3_f32 v148, v28, v29, v148                            // 0000000054F4: D1D30094 06523B1C
	v_max3_f32 v148, v30, v31, v148                            // 0000000054FC: D1D30094 06523F1E
	v_max3_f32 v148, v32, v33, v148                            // 000000005504: D1D30094 06524320
	v_max3_f32 v148, v34, v35, v148                            // 00000000550C: D1D30094 06524722
	v_max3_f32 v148, v36, v37, v148                            // 000000005514: D1D30094 06524B24
	v_max3_f32 v148, v38, v39, v148                            // 00000000551C: D1D30094 06524F26
	v_max3_f32 v148, v40, v41, v148                            // 000000005524: D1D30094 06525328
	v_max3_f32 v148, v42, v43, v148                            // 00000000552C: D1D30094 0652572A
	v_mov_b32_e32 v149, v44                                    // 000000005534: 7F2A032C
	v_max3_f32 v149, v44, v45, v149                            // 000000005538: D1D30095 06565B2C
	v_max3_f32 v149, v46, v47, v149                            // 000000005540: D1D30095 06565F2E
	v_max3_f32 v149, v48, v49, v149                            // 000000005548: D1D30095 06566330
	v_max3_f32 v149, v50, v51, v149                            // 000000005550: D1D30095 06566732
	v_max3_f32 v149, v52, v53, v149                            // 000000005558: D1D30095 06566B34
	v_max3_f32 v149, v54, v55, v149                            // 000000005560: D1D30095 06566F36
	v_max3_f32 v149, v56, v57, v149                            // 000000005568: D1D30095 06567338
	v_max3_f32 v149, v58, v59, v149                            // 000000005570: D1D30095 0656773A
	ds_write_b64 v214, v[148:149]                              // 000000005578: D89A0000 000094D6
	v_pk_mul_f32 v[108:109], v[140:141], v[108:109]            // 000000005580: D3B1406C 1802D98C
	v_pk_mul_f32 v[110:111], v[140:141], v[110:111]            // 000000005588: D3B1406E 1802DD8C
	v_pk_mul_f32 v[112:113], v[140:141], v[112:113]            // 000000005590: D3B14070 1802E18C
	v_pk_mul_f32 v[114:115], v[140:141], v[114:115]            // 000000005598: D3B14072 1802E58C
	v_pk_mul_f32 v[116:117], v[142:143], v[116:117]            // 0000000055A0: D3B14074 1802E98E
	v_pk_mul_f32 v[118:119], v[142:143], v[118:119]            // 0000000055A8: D3B14076 1802ED8E
	v_pk_mul_f32 v[120:121], v[142:143], v[120:121]            // 0000000055B0: D3B14078 1802F18E
	v_pk_mul_f32 v[122:123], v[142:143], v[122:123]            // 0000000055B8: D3B1407A 1802F58E
	s_waitcnt lgkmcnt(0)                                       // 0000000055C0: BF8CC07F
	s_barrier                                                  // 0000000055C4: BF8A0000
	ds_read_b64 v[152:153], v215                               // 0000000055C8: D8EC0000 980000D7
	ds_read_b64 v[154:155], v215 offset:128                    // 0000000055D0: D8EC0080 9A0000D7
	ds_read_b64 v[156:157], v215 offset:256                    // 0000000055D8: D8EC0100 9C0000D7
	ds_read_b64 v[158:159], v215 offset:384                    // 0000000055E0: D8EC0180 9E0000D7
	ds_read_b64 v[160:161], v215 offset:512                    // 0000000055E8: D8EC0200 A00000D7
	ds_read_b64 v[162:163], v215 offset:640                    // 0000000055F0: D8EC0280 A20000D7
	ds_read_b64 v[164:165], v215 offset:768                    // 0000000055F8: D8EC0300 A40000D7
	ds_read_b64 v[166:167], v215 offset:896                    // 000000005600: D8EC0380 A60000D7
	ds_read_b64 v[168:169], v215 offset:1024                   // 000000005608: D8EC0400 A80000D7
	ds_read_b64 v[170:171], v215 offset:1152                   // 000000005610: D8EC0480 AA0000D7
	ds_read_b64 v[172:173], v215 offset:1280                   // 000000005618: D8EC0500 AC0000D7
	ds_read_b64 v[174:175], v215 offset:1408                   // 000000005620: D8EC0580 AE0000D7
	ds_read_b64 v[176:177], v215 offset:1536                   // 000000005628: D8EC0600 B00000D7
	ds_read_b64 v[178:179], v215 offset:1664                   // 000000005630: D8EC0680 B20000D7
	ds_read_b64 v[180:181], v215 offset:1792                   // 000000005638: D8EC0700 B40000D7
	ds_read_b64 v[182:183], v215 offset:1920                   // 000000005640: D8EC0780 B60000D7
	v_pk_mul_f32 v[92:93], v[132:133], v[92:93]                // 000000005648: D3B1405C 1802B984
	v_pk_mul_f32 v[94:95], v[132:133], v[94:95]                // 000000005650: D3B1405E 1802BD84
	v_pk_mul_f32 v[96:97], v[132:133], v[96:97]                // 000000005658: D3B14060 1802C184
	v_pk_mul_f32 v[98:99], v[132:133], v[98:99]                // 000000005660: D3B14062 1802C584
	v_pk_mul_f32 v[100:101], v[134:135], v[100:101]            // 000000005668: D3B14064 1802C986
	v_pk_mul_f32 v[102:103], v[134:135], v[102:103]            // 000000005670: D3B14066 1802CD86
	v_pk_mul_f32 v[104:105], v[134:135], v[104:105]            // 000000005678: D3B14068 1802D186
	v_pk_mul_f32 v[106:107], v[134:135], v[106:107]            // 000000005680: D3B1406A 1802D586
	s_waitcnt lgkmcnt(0)                                       // 000000005688: BF8CC07F
	v_max3_f32 v148, v152, v154, v148                          // 00000000568C: D1D30094 06533598
	v_max3_f32 v149, v153, v155, v149                          // 000000005694: D1D30095 06573799
	v_max3_f32 v148, v156, v158, v148                          // 00000000569C: D1D30094 06533D9C
	v_max3_f32 v149, v157, v159, v149                          // 0000000056A4: D1D30095 06573F9D
	v_max3_f32 v148, v160, v162, v148                          // 0000000056AC: D1D30094 065345A0
	v_max3_f32 v149, v161, v163, v149                          // 0000000056B4: D1D30095 065747A1
	v_max3_f32 v148, v164, v166, v148                          // 0000000056BC: D1D30094 06534DA4
	v_max3_f32 v149, v165, v167, v149                          // 0000000056C4: D1D30095 06574FA5
	v_max3_f32 v148, v168, v170, v148                          // 0000000056CC: D1D30094 065355A8
	v_max3_f32 v149, v169, v171, v149                          // 0000000056D4: D1D30095 065757A9
	v_max3_f32 v148, v172, v174, v148                          // 0000000056DC: D1D30094 06535DAC
	v_max3_f32 v149, v173, v175, v149                          // 0000000056E4: D1D30095 06575FAD
	v_max3_f32 v148, v176, v178, v148                          // 0000000056EC: D1D30094 065365B0
	v_max3_f32 v149, v177, v179, v149                          // 0000000056F4: D1D30095 065767B1
	v_max3_f32 v148, v180, v182, v148                          // 0000000056FC: D1D30094 06536DB4
	v_max3_f32 v149, v181, v183, v149                          // 000000005704: D1D30095 06576FB5
	v_max_f32_e32 v138, v148, v136                             // 00000000570C: 17151194
	v_mul_f32_e64 v184, -s51, v138                             // 000000005710: D10500B8 20031433
	v_mov_b32_e32 v185, v184                                   // 000000005718: 7F7203B8
	v_pk_fma_f32 v[28:29], v[28:29], s[68:69], v[184:185]      // 00000000571C: D3B0401C 1EE0891C
	v_pk_fma_f32 v[30:31], v[30:31], s[68:69], v[184:185]      // 000000005724: D3B0401E 1EE0891E
	v_exp_f32_e32 v28, v28                                     // 00000000572C: 7E38411C
	v_exp_f32_e32 v29, v29                                     // 000000005730: 7E3A411D
	v_exp_f32_e32 v30, v30                                     // 000000005734: 7E3C411E
	v_exp_f32_e32 v31, v31                                     // 000000005738: 7E3E411F
	v_pk_fma_f32 v[32:33], v[32:33], s[68:69], v[184:185]      // 00000000573C: D3B04020 1EE08920
	v_pk_fma_f32 v[34:35], v[34:35], s[68:69], v[184:185]      // 000000005744: D3B04022 1EE08922
	v_exp_f32_e32 v32, v32                                     // 00000000574C: 7E404120
	v_exp_f32_e32 v33, v33                                     // 000000005750: 7E424121
	v_exp_f32_e32 v34, v34                                     // 000000005754: 7E444122
	v_exp_f32_e32 v35, v35                                     // 000000005758: 7E464123
	v_pk_fma_f32 v[36:37], v[36:37], s[68:69], v[184:185]      // 00000000575C: D3B04024 1EE08924
	v_pk_fma_f32 v[38:39], v[38:39], s[68:69], v[184:185]      // 000000005764: D3B04026 1EE08926
	v_exp_f32_e32 v36, v36                                     // 00000000576C: 7E484124
	v_exp_f32_e32 v37, v37                                     // 000000005770: 7E4A4125
	v_exp_f32_e32 v38, v38                                     // 000000005774: 7E4C4126
	v_exp_f32_e32 v39, v39                                     // 000000005778: 7E4E4127
	v_pk_fma_f32 v[40:41], v[40:41], s[68:69], v[184:185]      // 00000000577C: D3B04028 1EE08928
	v_pk_fma_f32 v[42:43], v[42:43], s[68:69], v[184:185]      // 000000005784: D3B0402A 1EE0892A
	v_exp_f32_e32 v40, v40                                     // 00000000578C: 7E504128
	v_exp_f32_e32 v41, v41                                     // 000000005790: 7E524129
	v_exp_f32_e32 v42, v42                                     // 000000005794: 7E54412A
	v_exp_f32_e32 v43, v43                                     // 000000005798: 7E56412B
	v_max_f32_e32 v139, v149, v137                             // 00000000579C: 17171395
	v_mul_f32_e64 v184, -s51, v139                             // 0000000057A0: D10500B8 20031633
	v_mov_b32_e32 v185, v184                                   // 0000000057A8: 7F7203B8
	v_pk_fma_f32 v[44:45], v[44:45], s[68:69], v[184:185]      // 0000000057AC: D3B0402C 1EE0892C
	v_pk_fma_f32 v[46:47], v[46:47], s[68:69], v[184:185]      // 0000000057B4: D3B0402E 1EE0892E
	v_exp_f32_e32 v44, v44                                     // 0000000057BC: 7E58412C
	v_exp_f32_e32 v45, v45                                     // 0000000057C0: 7E5A412D
	v_exp_f32_e32 v46, v46                                     // 0000000057C4: 7E5C412E
	v_exp_f32_e32 v47, v47                                     // 0000000057C8: 7E5E412F
	v_pk_fma_f32 v[48:49], v[48:49], s[68:69], v[184:185]      // 0000000057CC: D3B04030 1EE08930
	v_pk_fma_f32 v[50:51], v[50:51], s[68:69], v[184:185]      // 0000000057D4: D3B04032 1EE08932
	v_exp_f32_e32 v48, v48                                     // 0000000057DC: 7E604130
	v_exp_f32_e32 v49, v49                                     // 0000000057E0: 7E624131
	v_exp_f32_e32 v50, v50                                     // 0000000057E4: 7E644132
	v_exp_f32_e32 v51, v51                                     // 0000000057E8: 7E664133
	v_pk_fma_f32 v[52:53], v[52:53], s[68:69], v[184:185]      // 0000000057EC: D3B04034 1EE08934
	v_pk_fma_f32 v[54:55], v[54:55], s[68:69], v[184:185]      // 0000000057F4: D3B04036 1EE08936
	v_exp_f32_e32 v52, v52                                     // 0000000057FC: 7E684134
	v_exp_f32_e32 v53, v53                                     // 000000005800: 7E6A4135
	v_exp_f32_e32 v54, v54                                     // 000000005804: 7E6C4136
	v_exp_f32_e32 v55, v55                                     // 000000005808: 7E6E4137
	v_pk_fma_f32 v[56:57], v[56:57], s[68:69], v[184:185]      // 00000000580C: D3B04038 1EE08938
	v_pk_fma_f32 v[58:59], v[58:59], s[68:69], v[184:185]      // 000000005814: D3B0403A 1EE0893A
	v_exp_f32_e32 v56, v56                                     // 00000000581C: 7E704138
	v_exp_f32_e32 v57, v57                                     // 000000005820: 7E724139
	v_exp_f32_e32 v58, v58                                     // 000000005824: 7E74413A
	v_exp_f32_e32 v59, v59                                     // 000000005828: 7E76413B
	v_mul_f32_dpp v60, v131, v28 row_newbcast:0 row_mask:0xf bank_mask:0xf// 00000000582C: 0A7838FA FF015083
	v_mul_f32_dpp v61, v131, v29 row_newbcast:1 row_mask:0xf bank_mask:0xf// 000000005834: 0A7A3AFA FF015183
	v_mul_f32_dpp v62, v131, v30 row_newbcast:2 row_mask:0xf bank_mask:0xf// 00000000583C: 0A7C3CFA FF015283
	v_mul_f32_dpp v63, v131, v31 row_newbcast:3 row_mask:0xf bank_mask:0xf// 000000005844: 0A7E3EFA FF015383
	v_mul_f32_dpp v64, v131, v32 row_newbcast:4 row_mask:0xf bank_mask:0xf// 00000000584C: 0A8040FA FF015483
	v_mul_f32_dpp v65, v131, v33 row_newbcast:5 row_mask:0xf bank_mask:0xf// 000000005854: 0A8242FA FF015583
	v_mul_f32_dpp v66, v131, v34 row_newbcast:6 row_mask:0xf bank_mask:0xf// 00000000585C: 0A8444FA FF015683
	v_mul_f32_dpp v67, v131, v35 row_newbcast:7 row_mask:0xf bank_mask:0xf// 000000005864: 0A8646FA FF015783
	v_mul_f32_dpp v68, v131, v36 row_newbcast:8 row_mask:0xf bank_mask:0xf// 00000000586C: 0A8848FA FF015883
	v_mul_f32_dpp v69, v131, v37 row_newbcast:9 row_mask:0xf bank_mask:0xf// 000000005874: 0A8A4AFA FF015983
	v_mul_f32_dpp v70, v131, v38 row_newbcast:10 row_mask:0xf bank_mask:0xf// 00000000587C: 0A8C4CFA FF015A83
	v_mul_f32_dpp v71, v131, v39 row_newbcast:11 row_mask:0xf bank_mask:0xf// 000000005884: 0A8E4EFA FF015B83
	v_mul_f32_dpp v72, v131, v40 row_newbcast:12 row_mask:0xf bank_mask:0xf// 00000000588C: 0A9050FA FF015C83
	v_mul_f32_dpp v73, v131, v41 row_newbcast:13 row_mask:0xf bank_mask:0xf// 000000005894: 0A9252FA FF015D83
	v_mul_f32_dpp v74, v131, v42 row_newbcast:14 row_mask:0xf bank_mask:0xf// 00000000589C: 0A9454FA FF015E83
	v_mul_f32_dpp v75, v131, v43 row_newbcast:15 row_mask:0xf bank_mask:0xf// 0000000058A4: 0A9656FA FF015F83
	v_mul_f32_dpp v76, v131, v44 row_newbcast:0 row_mask:0xf bank_mask:0xf// 0000000058AC: 0A9858FA FF015083
	v_mul_f32_dpp v77, v131, v45 row_newbcast:1 row_mask:0xf bank_mask:0xf// 0000000058B4: 0A9A5AFA FF015183
	v_mul_f32_dpp v78, v131, v46 row_newbcast:2 row_mask:0xf bank_mask:0xf// 0000000058BC: 0A9C5CFA FF015283
	v_mul_f32_dpp v79, v131, v47 row_newbcast:3 row_mask:0xf bank_mask:0xf// 0000000058C4: 0A9E5EFA FF015383
	v_mul_f32_dpp v80, v131, v48 row_newbcast:4 row_mask:0xf bank_mask:0xf// 0000000058CC: 0AA060FA FF015483
	v_mul_f32_dpp v81, v131, v49 row_newbcast:5 row_mask:0xf bank_mask:0xf// 0000000058D4: 0AA262FA FF015583
	v_mul_f32_dpp v82, v131, v50 row_newbcast:6 row_mask:0xf bank_mask:0xf// 0000000058DC: 0AA464FA FF015683
	v_mul_f32_dpp v83, v131, v51 row_newbcast:7 row_mask:0xf bank_mask:0xf// 0000000058E4: 0AA666FA FF015783
	v_mul_f32_dpp v84, v131, v52 row_newbcast:8 row_mask:0xf bank_mask:0xf// 0000000058EC: 0AA868FA FF015883
	v_mul_f32_dpp v85, v131, v53 row_newbcast:9 row_mask:0xf bank_mask:0xf// 0000000058F4: 0AAA6AFA FF015983
	v_mul_f32_dpp v86, v131, v54 row_newbcast:10 row_mask:0xf bank_mask:0xf// 0000000058FC: 0AAC6CFA FF015A83
	v_mul_f32_dpp v87, v131, v55 row_newbcast:11 row_mask:0xf bank_mask:0xf// 000000005904: 0AAE6EFA FF015B83
	v_mul_f32_dpp v88, v131, v56 row_newbcast:12 row_mask:0xf bank_mask:0xf// 00000000590C: 0AB070FA FF015C83
	v_mul_f32_dpp v89, v131, v57 row_newbcast:13 row_mask:0xf bank_mask:0xf// 000000005914: 0AB272FA FF015D83
	v_mul_f32_dpp v90, v131, v58 row_newbcast:14 row_mask:0xf bank_mask:0xf// 00000000591C: 0AB474FA FF015E83
	v_mul_f32_dpp v91, v131, v59 row_newbcast:15 row_mask:0xf bank_mask:0xf// 000000005924: 0AB676FA FF015F83
	v_mov_b32_e32 v148, 0x358637bd                             // 00000000592C: 7F2802FF 358637BD
	v_max3_f32 v148, |v60|, |v61|, v148                        // 000000005934: D1D30394 06527B3C
	v_max3_f32 v148, |v62|, |v63|, v148                        // 00000000593C: D1D30394 06527F3E
	v_max3_f32 v148, |v64|, |v65|, v148                        // 000000005944: D1D30394 06528340
	v_max3_f32 v148, |v66|, |v67|, v148                        // 00000000594C: D1D30394 06528742
	v_max3_f32 v148, |v68|, |v69|, v148                        // 000000005954: D1D30394 06528B44
	v_max3_f32 v148, |v70|, |v71|, v148                        // 00000000595C: D1D30394 06528F46
	v_max3_f32 v148, |v72|, |v73|, v148                        // 000000005964: D1D30394 06529348
	v_max3_f32 v148, |v74|, |v75|, v148                        // 00000000596C: D1D30394 0652974A
	v_mov_b32_e32 v149, 0x358637bd                             // 000000005974: 7F2A02FF 358637BD
	v_max3_f32 v149, |v76|, |v77|, v149                        // 00000000597C: D1D30395 06569B4C
	v_max3_f32 v149, |v78|, |v79|, v149                        // 000000005984: D1D30395 06569F4E
	v_max3_f32 v149, |v80|, |v81|, v149                        // 00000000598C: D1D30395 0656A350
	v_max3_f32 v149, |v82|, |v83|, v149                        // 000000005994: D1D30395 0656A752
	v_max3_f32 v149, |v84|, |v85|, v149                        // 00000000599C: D1D30395 0656AB54
	v_max3_f32 v149, |v86|, |v87|, v149                        // 0000000059A4: D1D30395 0656AF56
	v_max3_f32 v149, |v88|, |v89|, v149                        // 0000000059AC: D1D30395 0656B358
	v_max3_f32 v149, |v90|, |v91|, v149                        // 0000000059B4: D1D30395 0656B75A
	ds_write_b64 v214, v[148:149] offset:2304                  // 0000000059BC: D89A0900 000094D6
	buffer_load_dword v128, v206, s[28:31], 0 offen            // 0000000059C4: E0501000 800780CE
	v_sub_f32_e32 v140, v136, v138                             // 0000000059CC: 05191588
	v_cmp_eq_u32_e64 s[92:93], v195, v136                      // 0000000059D0: D0CA005C 000311C3
	s_nop 0                                                    // 0000000059D8: BF800000
	v_cndmask_b32_e64 v140, v140, 0, s[92:93]                  // 0000000059DC: D100008C 0171018C
	v_mov_b32_e32 v136, v138                                   // 0000000059E4: 7F10038A
	v_mul_f32_e32 v140, s51, v140                              // 0000000059E8: 0B191833
	v_exp_f32_e32 v140, v140                                   // 0000000059EC: 7F18418C
	v_sub_f32_e32 v142, v137, v139                             // 0000000059F0: 051D1789
	v_cmp_eq_u32_e64 s[92:93], v195, v137                      // 0000000059F4: D0CA005C 000313C3
	s_nop 0                                                    // 0000000059FC: BF800000
	v_cndmask_b32_e64 v142, v142, 0, s[92:93]                  // 000000005A00: D100008E 0171018E
	v_mov_b32_e32 v137, v139                                   // 000000005A08: 7F12038B
	v_mul_f32_e32 v142, s51, v142                              // 000000005A0C: 0B1D1C33
	v_exp_f32_e32 v142, v142                                   // 000000005A10: 7F1C418E
	v_mov_b32_e32 v141, v140                                   // 000000005A14: 7F1A038C
	v_mov_b32_e32 v143, v142                                   // 000000005A18: 7F1E038E
	buffer_load_dword v130, v207, s[32:35], 0 offen            // 000000005A1C: E0501000 800882CF
	s_waitcnt lgkmcnt(0)                                       // 000000005A24: BF8CC07F
	s_barrier                                                  // 000000005A28: BF8A0000
	ds_read_b64 v[152:153], v215 offset:2304                   // 000000005A2C: D8EC0900 980000D7
	ds_read_b64 v[154:155], v215 offset:2432                   // 000000005A34: D8EC0980 9A0000D7
	ds_read_b64 v[156:157], v215 offset:2560                   // 000000005A3C: D8EC0A00 9C0000D7
	ds_read_b64 v[158:159], v215 offset:2688                   // 000000005A44: D8EC0A80 9E0000D7
	ds_read_b64 v[160:161], v215 offset:2816                   // 000000005A4C: D8EC0B00 A00000D7
	ds_read_b64 v[162:163], v215 offset:2944                   // 000000005A54: D8EC0B80 A20000D7
	ds_read_b64 v[164:165], v215 offset:3072                   // 000000005A5C: D8EC0C00 A40000D7
	ds_read_b64 v[166:167], v215 offset:3200                   // 000000005A64: D8EC0C80 A60000D7
	ds_read_b64 v[168:169], v215 offset:3328                   // 000000005A6C: D8EC0D00 A80000D7
	ds_read_b64 v[170:171], v215 offset:3456                   // 000000005A74: D8EC0D80 AA0000D7
	ds_read_b64 v[172:173], v215 offset:3584                   // 000000005A7C: D8EC0E00 AC0000D7
	ds_read_b64 v[174:175], v215 offset:3712                   // 000000005A84: D8EC0E80 AE0000D7
	ds_read_b64 v[176:177], v215 offset:3840                   // 000000005A8C: D8EC0F00 B00000D7
	ds_read_b64 v[178:179], v215 offset:3968                   // 000000005A94: D8EC0F80 B20000D7
	ds_read_b64 v[180:181], v215 offset:4096                   // 000000005A9C: D8EC1000 B40000D7
	ds_read_b64 v[182:183], v215 offset:4224                   // 000000005AA4: D8EC1080 B60000D7
	v_mul_f32_e32 v144, v140, v144                             // 000000005AAC: 0B21218C
	v_add_f32_e32 v144, v28, v144                              // 000000005AB0: 0321211C
	v_add_f32_e32 v144, v29, v144                              // 000000005AB4: 0321211D
	v_add_f32_e32 v144, v30, v144                              // 000000005AB8: 0321211E
	v_add_f32_e32 v144, v31, v144                              // 000000005ABC: 0321211F
	v_add_f32_e32 v144, v32, v144                              // 000000005AC0: 03212120
	v_add_f32_e32 v144, v33, v144                              // 000000005AC4: 03212121
	v_add_f32_e32 v144, v34, v144                              // 000000005AC8: 03212122
	v_add_f32_e32 v144, v35, v144                              // 000000005ACC: 03212123
	v_add_f32_e32 v144, v36, v144                              // 000000005AD0: 03212124
	v_add_f32_e32 v144, v37, v144                              // 000000005AD4: 03212125
	v_add_f32_e32 v144, v38, v144                              // 000000005AD8: 03212126
	v_add_f32_e32 v144, v39, v144                              // 000000005ADC: 03212127
	v_add_f32_e32 v144, v40, v144                              // 000000005AE0: 03212128
	v_add_f32_e32 v144, v41, v144                              // 000000005AE4: 03212129
	v_add_f32_e32 v144, v42, v144                              // 000000005AE8: 0321212A
	v_add_f32_e32 v144, v43, v144                              // 000000005AEC: 0321212B
	v_mul_f32_e32 v145, v142, v145                             // 000000005AF0: 0B23238E
	v_add_f32_e32 v145, v44, v145                              // 000000005AF4: 0323232C
	v_add_f32_e32 v145, v45, v145                              // 000000005AF8: 0323232D
	v_add_f32_e32 v145, v46, v145                              // 000000005AFC: 0323232E
	v_add_f32_e32 v145, v47, v145                              // 000000005B00: 0323232F
	v_add_f32_e32 v145, v48, v145                              // 000000005B04: 03232330
	v_add_f32_e32 v145, v49, v145                              // 000000005B08: 03232331
	v_add_f32_e32 v145, v50, v145                              // 000000005B0C: 03232332
	v_add_f32_e32 v145, v51, v145                              // 000000005B10: 03232333
	v_add_f32_e32 v145, v52, v145                              // 000000005B14: 03232334
	v_add_f32_e32 v145, v53, v145                              // 000000005B18: 03232335
	v_add_f32_e32 v145, v54, v145                              // 000000005B1C: 03232336
	v_add_f32_e32 v145, v55, v145                              // 000000005B20: 03232337
	v_add_f32_e32 v145, v56, v145                              // 000000005B24: 03232338
	v_add_f32_e32 v145, v57, v145                              // 000000005B28: 03232339
	v_add_f32_e32 v145, v58, v145                              // 000000005B2C: 0323233A
	v_add_f32_e32 v145, v59, v145                              // 000000005B30: 0323233B
	s_waitcnt lgkmcnt(0)                                       // 000000005B34: BF8CC07F
	v_max3_f32 v148, v152, v154, v148                          // 000000005B38: D1D30094 06533598
	v_max3_f32 v149, v153, v155, v149                          // 000000005B40: D1D30095 06573799
	v_max3_f32 v148, v156, v158, v148                          // 000000005B48: D1D30094 06533D9C
	v_max3_f32 v149, v157, v159, v149                          // 000000005B50: D1D30095 06573F9D
	v_max3_f32 v148, v160, v162, v148                          // 000000005B58: D1D30094 065345A0
	v_max3_f32 v149, v161, v163, v149                          // 000000005B60: D1D30095 065747A1
	v_max3_f32 v148, v164, v166, v148                          // 000000005B68: D1D30094 06534DA4
	v_max3_f32 v149, v165, v167, v149                          // 000000005B70: D1D30095 06574FA5
	v_max3_f32 v148, v168, v170, v148                          // 000000005B78: D1D30094 065355A8
	v_max3_f32 v149, v169, v171, v149                          // 000000005B80: D1D30095 065757A9
	v_max3_f32 v148, v172, v174, v148                          // 000000005B88: D1D30094 06535DAC
	v_max3_f32 v149, v173, v175, v149                          // 000000005B90: D1D30095 06575FAD
	v_max3_f32 v148, v176, v178, v148                          // 000000005B98: D1D30094 065365B0
	v_max3_f32 v149, v177, v179, v149                          // 000000005BA0: D1D30095 065767B1
	v_max3_f32 v148, v180, v182, v148                          // 000000005BA8: D1D30094 06536DB4
	v_max3_f32 v149, v181, v183, v149                          // 000000005BB0: D1D30095 06576FB5
	v_rcp_f32_e32 v148, v148                                   // 000000005BB8: 7F284594
	v_rcp_f32_e32 v149, v149                                   // 000000005BBC: 7F2A4595
	v_mul_f32_e32 v148, 0x43700000, v148                       // 000000005BC0: 0B2928FF 43700000
	v_mul_f32_e32 v149, 0x43700000, v149                       // 000000005BC8: 0B2B2AFF 43700000
	v_mov_b32_e32 v150, v149                                   // 000000005BD0: 7F2C0395
	v_mov_b32_e32 v151, v149                                   // 000000005BD4: 7F2E0395
	v_mov_b32_e32 v149, v148                                   // 000000005BD8: 7F2A0394
	v_pk_mul_f32 v[28:29], v[148:149], v[60:61]                // 000000005BDC: D3B1401C 18027994
	v_pk_mul_f32 v[30:31], v[148:149], v[62:63]                // 000000005BE4: D3B1401E 18027D94
	v_pk_mul_f32 v[32:33], v[148:149], v[64:65]                // 000000005BEC: D3B14020 18028194
	v_pk_mul_f32 v[34:35], v[148:149], v[66:67]                // 000000005BF4: D3B14022 18028594
	v_pk_mul_f32 v[36:37], v[148:149], v[68:69]                // 000000005BFC: D3B14024 18028994
	v_pk_mul_f32 v[38:39], v[148:149], v[70:71]                // 000000005C04: D3B14026 18028D94
	v_pk_mul_f32 v[40:41], v[148:149], v[72:73]                // 000000005C0C: D3B14028 18029194
	v_pk_mul_f32 v[42:43], v[148:149], v[74:75]                // 000000005C14: D3B1402A 18029594
	v_pk_mul_f32 v[44:45], v[150:151], v[76:77]                // 000000005C1C: D3B1402C 18029996
	v_pk_mul_f32 v[46:47], v[150:151], v[78:79]                // 000000005C24: D3B1402E 18029D96
	v_pk_mul_f32 v[48:49], v[150:151], v[80:81]                // 000000005C2C: D3B14030 1802A196
	v_pk_mul_f32 v[50:51], v[150:151], v[82:83]                // 000000005C34: D3B14032 1802A596
	v_pk_mul_f32 v[52:53], v[150:151], v[84:85]                // 000000005C3C: D3B14034 1802A996
	v_pk_mul_f32 v[54:55], v[150:151], v[86:87]                // 000000005C44: D3B14036 1802AD96
	v_pk_mul_f32 v[56:57], v[150:151], v[88:89]                // 000000005C4C: D3B14038 1802B196
	v_pk_mul_f32 v[58:59], v[150:151], v[90:91]                // 000000005C54: D3B1403A 1802B596
	v_cvt_pk_fp8_f32 v28, v28, v29                             // 000000005C5C: D2A2001C 00023B1C
	v_cvt_pk_fp8_f32 v28, v30, v31 op_sel:[0,0,1]              // 000000005C64: D2A2401C 00023F1E
	v_cvt_pk_fp8_f32 v29, v32, v33                             // 000000005C6C: D2A2001D 00024320
	v_cvt_pk_fp8_f32 v29, v34, v35 op_sel:[0,0,1]              // 000000005C74: D2A2401D 00024722
	v_cvt_pk_fp8_f32 v30, v36, v37                             // 000000005C7C: D2A2001E 00024B24
	v_cvt_pk_fp8_f32 v30, v38, v39 op_sel:[0,0,1]              // 000000005C84: D2A2401E 00024F26
	v_cvt_pk_fp8_f32 v31, v40, v41                             // 000000005C8C: D2A2001F 00025328
	v_cvt_pk_fp8_f32 v31, v42, v43 op_sel:[0,0,1]              // 000000005C94: D2A2401F 0002572A
	v_cvt_pk_fp8_f32 v32, v44, v45                             // 000000005C9C: D2A20020 00025B2C
	v_cvt_pk_fp8_f32 v32, v46, v47 op_sel:[0,0,1]              // 000000005CA4: D2A24020 00025F2E
	v_cvt_pk_fp8_f32 v33, v48, v49                             // 000000005CAC: D2A20021 00026330
	v_cvt_pk_fp8_f32 v33, v50, v51 op_sel:[0,0,1]              // 000000005CB4: D2A24021 00026732
	v_cvt_pk_fp8_f32 v34, v52, v53                             // 000000005CBC: D2A20022 00026B34
	v_cvt_pk_fp8_f32 v34, v54, v55 op_sel:[0,0,1]              // 000000005CC4: D2A24022 00026F36
	v_cvt_pk_fp8_f32 v35, v56, v57                             // 000000005CCC: D2A20023 00027338
	v_cvt_pk_fp8_f32 v35, v58, v59 op_sel:[0,0,1]              // 000000005CD4: D2A24023 0002773A
	ds_write_b32 v216, v28 offset:4608                         // 000000005CDC: D81A1200 00001CD8
	ds_write_b32 v216, v29 offset:5632                         // 000000005CE4: D81A1600 00001DD8
	ds_write_b32 v216, v30 offset:6656                         // 000000005CEC: D81A1A00 00001ED8
	ds_write_b32 v216, v31 offset:7680                         // 000000005CF4: D81A1E00 00001FD8
	ds_write_b32 v216, v32 offset:8704                         // 000000005CFC: D81A2200 000020D8
	ds_write_b32 v216, v33 offset:9728                         // 000000005D04: D81A2600 000021D8
	ds_write_b32 v216, v34 offset:10752                        // 000000005D0C: D81A2A00 000022D8
	ds_write_b32 v216, v35 offset:11776                        // 000000005D14: D81A2E00 000023D8
	v_rcp_f32_e32 v132, v148                                   // 000000005D1C: 7F084594
	v_rcp_f32_e32 v134, v150                                   // 000000005D20: 7F0C4596
	v_mov_b32_e32 v133, v132                                   // 000000005D24: 7F0A0384
	v_mov_b32_e32 v135, v134                                   // 000000005D28: 7F0E0386
	v_pk_add_f32 v[108:109], v[108:109], v[92:93]              // 000000005D2C: D3B2406C 1802B96C
	v_pk_add_f32 v[110:111], v[110:111], v[94:95]              // 000000005D34: D3B2406E 1802BD6E
	v_pk_add_f32 v[112:113], v[112:113], v[96:97]              // 000000005D3C: D3B24070 1802C170
	v_pk_add_f32 v[114:115], v[114:115], v[98:99]              // 000000005D44: D3B24072 1802C572
	v_pk_add_f32 v[116:117], v[116:117], v[100:101]            // 000000005D4C: D3B24074 1802C974
	v_pk_add_f32 v[118:119], v[118:119], v[102:103]            // 000000005D54: D3B24076 1802CD76
	v_pk_add_f32 v[120:121], v[120:121], v[104:105]            // 000000005D5C: D3B24078 1802D178
	v_pk_add_f32 v[122:123], v[122:123], v[106:107]            // 000000005D64: D3B2407A 1802D57A
	s_waitcnt lgkmcnt(0)                                       // 000000005D6C: BF8CC07F
	s_barrier                                                  // 000000005D70: BF8A0000
	ds_read_b128 v[28:31], v217 offset:4608                    // 000000005D74: D9FE1200 1C0000D9
	ds_read_b128 v[32:35], v217 offset:5632                    // 000000005D7C: D9FE1600 200000D9
	ds_read_b128 v[36:39], v217 offset:6656                    // 000000005D84: D9FE1A00 240000D9
	ds_read_b128 v[40:43], v217 offset:7680                    // 000000005D8C: D9FE1E00 280000D9
	ds_read_b128 v[44:47], v217 offset:8704                    // 000000005D94: D9FE2200 2C0000D9
	ds_read_b128 v[48:51], v217 offset:9728                    // 000000005D9C: D9FE2600 300000D9
	ds_read_b128 v[52:55], v217 offset:10752                   // 000000005DA4: D9FE2A00 340000D9
	ds_read_b128 v[56:59], v217 offset:11776                   // 000000005DAC: D9FE2E00 380000D9
	s_waitcnt vmcnt(10)                                        // 000000005DB4: BF8C0F7A
	s_waitcnt lgkmcnt(7)                                       // 000000005DB8: BF8CC77F
	v_mfma_f32_16x16x32_fp8_fp8 v[92:95], a[96:97], v[28:29], 0// 000000005DBC: D3F3005C 0A023960
	v_mfma_f32_16x16x32_fp8_fp8 v[96:99], a[112:113], v[28:29], 0// 000000005DC4: D3F30060 0A023970
	v_mfma_f32_16x16x32_fp8_fp8 v[92:95], a[98:99], v[30:31], v[92:95]// 000000005DCC: D3F3005C 0D723D62
	buffer_load_dwordx4 a[64:67], v202, s[16:19], 0 offen      // 000000005DD4: E05C1000 808440CA
	v_mfma_f32_16x16x32_fp8_fp8 v[96:99], a[114:115], v[30:31], v[96:99]// 000000005DDC: D3F30060 0D823D72
	s_waitcnt lgkmcnt(6)                                       // 000000005DE4: BF8CC67F
	v_mfma_f32_16x16x32_fp8_fp8 v[92:95], a[100:101], v[32:33], v[92:95]// 000000005DE8: D3F3005C 0D724164
	v_mfma_f32_16x16x32_fp8_fp8 v[96:99], a[116:117], v[32:33], v[96:99]// 000000005DF0: D3F30060 0D824174
	v_mfma_f32_16x16x32_fp8_fp8 v[92:95], a[102:103], v[34:35], v[92:95]// 000000005DF8: D3F3005C 0D724566
	buffer_load_dwordx4 a[68:71], v203, s[16:19], 0 offen      // 000000005E00: E05C1000 808444CB
	v_mfma_f32_16x16x32_fp8_fp8 v[96:99], a[118:119], v[34:35], v[96:99]// 000000005E08: D3F30060 0D824576
	s_waitcnt lgkmcnt(5)                                       // 000000005E10: BF8CC57F
	v_mfma_f32_16x16x32_fp8_fp8 v[92:95], a[104:105], v[36:37], v[92:95]// 000000005E14: D3F3005C 0D724968
	v_mfma_f32_16x16x32_fp8_fp8 v[96:99], a[120:121], v[36:37], v[96:99]// 000000005E1C: D3F30060 0D824978
	v_mfma_f32_16x16x32_fp8_fp8 v[92:95], a[106:107], v[38:39], v[92:95]// 000000005E24: D3F3005C 0D724D6A
	buffer_load_dwordx4 a[72:75], v204, s[16:19], 0 offen      // 000000005E2C: E05C1000 808448CC
	v_mfma_f32_16x16x32_fp8_fp8 v[96:99], a[122:123], v[38:39], v[96:99]// 000000005E34: D3F30060 0D824D7A
	s_waitcnt lgkmcnt(4)                                       // 000000005E3C: BF8CC47F
	v_mfma_f32_16x16x32_fp8_fp8 v[92:95], a[108:109], v[40:41], v[92:95]// 000000005E40: D3F3005C 0D72516C
	v_mfma_f32_16x16x32_fp8_fp8 v[96:99], a[124:125], v[40:41], v[96:99]// 000000005E48: D3F30060 0D82517C
	v_mfma_f32_16x16x32_fp8_fp8 v[92:95], a[110:111], v[42:43], v[92:95]// 000000005E50: D3F3005C 0D72556E
	buffer_load_dwordx4 a[76:79], v205, s[16:19], 0 offen      // 000000005E58: E05C1000 80844CCD
	v_mfma_f32_16x16x32_fp8_fp8 v[96:99], a[126:127], v[42:43], v[96:99]// 000000005E60: D3F30060 0D82557E
	s_waitcnt lgkmcnt(3)                                       // 000000005E68: BF8CC37F
	v_mfma_f32_16x16x32_fp8_fp8 v[100:103], a[96:97], v[44:45], 0// 000000005E6C: D3F30064 0A025960
	v_mfma_f32_16x16x32_fp8_fp8 v[104:107], a[112:113], v[44:45], 0// 000000005E74: D3F30068 0A025970
	v_mfma_f32_16x16x32_fp8_fp8 v[100:103], a[98:99], v[46:47], v[100:103]// 000000005E7C: D3F30064 0D925D62
	buffer_load_dwordx4 a[80:83], v202, s[16:19], 0 offen offset:1024// 000000005E84: E05C1400 808450CA
	v_mfma_f32_16x16x32_fp8_fp8 v[104:107], a[114:115], v[46:47], v[104:107]// 000000005E8C: D3F30068 0DA25D72
	s_waitcnt lgkmcnt(2)                                       // 000000005E94: BF8CC27F
	v_mfma_f32_16x16x32_fp8_fp8 v[100:103], a[100:101], v[48:49], v[100:103]// 000000005E98: D3F30064 0D926164
	v_mfma_f32_16x16x32_fp8_fp8 v[104:107], a[116:117], v[48:49], v[104:107]// 000000005EA0: D3F30068 0DA26174
	v_mfma_f32_16x16x32_fp8_fp8 v[100:103], a[102:103], v[50:51], v[100:103]// 000000005EA8: D3F30064 0D926566
	buffer_load_dwordx4 a[84:87], v203, s[16:19], 0 offen offset:1024// 000000005EB0: E05C1400 808454CB
	v_mfma_f32_16x16x32_fp8_fp8 v[104:107], a[118:119], v[50:51], v[104:107]// 000000005EB8: D3F30068 0DA26576
	s_waitcnt lgkmcnt(1)                                       // 000000005EC0: BF8CC17F
	v_mfma_f32_16x16x32_fp8_fp8 v[100:103], a[104:105], v[52:53], v[100:103]// 000000005EC4: D3F30064 0D926968
	v_mfma_f32_16x16x32_fp8_fp8 v[104:107], a[120:121], v[52:53], v[104:107]// 000000005ECC: D3F30068 0DA26978
	v_mfma_f32_16x16x32_fp8_fp8 v[100:103], a[106:107], v[54:55], v[100:103]// 000000005ED4: D3F30064 0D926D6A
	buffer_load_dwordx4 a[88:91], v204, s[16:19], 0 offen offset:1024// 000000005EDC: E05C1400 808458CC
	v_mfma_f32_16x16x32_fp8_fp8 v[104:107], a[122:123], v[54:55], v[104:107]// 000000005EE4: D3F30068 0DA26D7A
	s_waitcnt lgkmcnt(0)                                       // 000000005EEC: BF8CC07F
	v_mfma_f32_16x16x32_fp8_fp8 v[100:103], a[108:109], v[56:57], v[100:103]// 000000005EF0: D3F30064 0D92716C
	v_mfma_f32_16x16x32_fp8_fp8 v[104:107], a[124:125], v[56:57], v[104:107]// 000000005EF8: D3F30068 0DA2717C
	v_mfma_f32_16x16x32_fp8_fp8 v[100:103], a[110:111], v[58:59], v[100:103]// 000000005F00: D3F30064 0D92756E
	buffer_load_dwordx4 a[92:95], v205, s[16:19], 0 offen offset:1024// 000000005F08: E05C1400 80845CCD
	v_mfma_f32_16x16x32_fp8_fp8 v[104:107], a[126:127], v[58:59], v[104:107]// 000000005F10: D3F30068 0DA2757E
	s_addk_i32 s49, 0x100                                      // 000000005F18: B7310100
	s_branch label_024F                                        // 000000005F1C: BF82F2C7

0000000000005f20 <label_0F88>:
	s_cmp_lt_i32 s49, s50                                      // 000000005F20: BF043231
	s_cbranch_scc0 label_1CC1                                  // 000000005F24: BF840D37
	s_waitcnt vmcnt(10)                                        // 000000005F28: BF8C0F7A
	v_mfma_f32_16x16x32_fp8_fp8 v[28:31], a[0:1], v[12:13], 0  // 000000005F2C: D3F3001C 0A021900
	s_add_u32 s12, s84, s64                                    // 000000005F34: 800C4054
	s_addc_u32 s13, s85, 0                                     // 000000005F38: 820D8055
	v_mfma_f32_16x16x32_fp8_fp8 v[28:31], a[2:3], v[14:15], v[28:31]// 000000005F3C: D3F3001C 0C721D02
	s_add_u32 s16, s86, s65                                    // 000000005F44: 80104156
	s_addc_u32 s17, s87, 0                                     // 000000005F48: 82118057
	v_mfma_f32_16x16x32_fp8_fp8 v[28:31], a[4:5], v[16:17], v[28:31]// 000000005F4C: D3F3001C 0C722104
	buffer_load_dwordx4 a[32:35], v200, s[12:15], 0 offen      // 000000005F54: E05C1000 808320C8
	v_mfma_f32_16x16x32_fp8_fp8 v[28:31], a[6:7], v[18:19], v[28:31]// 000000005F5C: D3F3001C 0C722506
	s_add_u32 s28, s88, s66                                    // 000000005F64: 801C4258
	s_addc_u32 s29, s89, 0                                     // 000000005F68: 821D8059
	v_mfma_f32_16x16x32_fp8_fp8 v[32:35], a[8:9], v[12:13], 0  // 000000005F6C: D3F30020 0A021908
	s_add_u32 s32, s90, s66                                    // 000000005F74: 8020425A
	s_addc_u32 s33, s91, 0                                     // 000000005F78: 8221805B
	v_mfma_f32_16x16x32_fp8_fp8 v[32:35], a[10:11], v[14:15], v[32:35]// 000000005F7C: D3F30020 0C821D0A
	s_add_u32 s64, s64, 0x1000                                 // 000000005F84: 8040FF40 00001000
	s_add_u32 s65, s65, 0x8000                                 // 000000005F8C: 8041FF41 00008000
	v_mfma_f32_16x16x32_fp8_fp8 v[32:35], a[12:13], v[16:17], v[32:35]// 000000005F94: D3F30020 0C82210C
	buffer_load_dwordx4 a[36:39], v201, s[12:15], 0 offen      // 000000005F9C: E05C1000 808324C9
	v_mfma_f32_16x16x32_fp8_fp8 v[32:35], a[14:15], v[18:19], v[32:35]// 000000005FA4: D3F30020 0C82250E
	s_add_u32 s66, s66, 0x400                                  // 000000005FAC: 8042FF42 00000400
	v_mfma_f32_16x16x32_fp8_fp8 v[36:39], a[16:17], v[12:13], 0// 000000005FB4: D3F30024 0A021910
	v_mfma_f32_16x16x32_fp8_fp8 v[36:39], a[18:19], v[14:15], v[36:39]// 000000005FBC: D3F30024 0C921D12
	v_mfma_f32_16x16x32_fp8_fp8 v[36:39], a[20:21], v[16:17], v[36:39]// 000000005FC4: D3F30024 0C922114
	buffer_load_dwordx4 a[40:43], v200, s[12:15], 0 offen offset:1024// 000000005FCC: E05C1400 808328C8
	v_mfma_f32_16x16x32_fp8_fp8 v[36:39], a[22:23], v[18:19], v[36:39]// 000000005FD4: D3F30024 0C922516
	v_mfma_f32_16x16x32_fp8_fp8 v[40:43], a[24:25], v[12:13], 0// 000000005FDC: D3F30028 0A021918
	v_mfma_f32_16x16x32_fp8_fp8 v[40:43], a[26:27], v[14:15], v[40:43]// 000000005FE4: D3F30028 0CA21D1A
	v_mfma_f32_16x16x32_fp8_fp8 v[40:43], a[28:29], v[16:17], v[40:43]// 000000005FEC: D3F30028 0CA2211C
	buffer_load_dwordx4 a[44:47], v201, s[12:15], 0 offen offset:1024// 000000005FF4: E05C1400 80832CC9
	v_mfma_f32_16x16x32_fp8_fp8 v[40:43], a[30:31], v[18:19], v[40:43]// 000000005FFC: D3F30028 0CA2251E
	v_mfma_f32_16x16x32_fp8_fp8 v[44:47], a[0:1], v[20:21], 0  // 000000006004: D3F3002C 0A022900
	v_mfma_f32_16x16x32_fp8_fp8 v[44:47], a[2:3], v[22:23], v[44:47]// 00000000600C: D3F3002C 0CB22D02
	v_mfma_f32_16x16x32_fp8_fp8 v[44:47], a[4:5], v[24:25], v[44:47]// 000000006014: D3F3002C 0CB23104
	buffer_load_dwordx4 a[48:51], v200, s[12:15], 0 offen offset:2048// 00000000601C: E05C1800 808330C8
	v_mfma_f32_16x16x32_fp8_fp8 v[44:47], a[6:7], v[26:27], v[44:47]// 000000006024: D3F3002C 0CB23506
	v_mfma_f32_16x16x32_fp8_fp8 v[48:51], a[8:9], v[20:21], 0  // 00000000602C: D3F30030 0A022908
	v_mfma_f32_16x16x32_fp8_fp8 v[48:51], a[10:11], v[22:23], v[48:51]// 000000006034: D3F30030 0CC22D0A
	v_mfma_f32_16x16x32_fp8_fp8 v[48:51], a[12:13], v[24:25], v[48:51]// 00000000603C: D3F30030 0CC2310C
	buffer_load_dwordx4 a[52:55], v201, s[12:15], 0 offen offset:2048// 000000006044: E05C1800 808334C9
	v_mfma_f32_16x16x32_fp8_fp8 v[48:51], a[14:15], v[26:27], v[48:51]// 00000000604C: D3F30030 0CC2350E
	v_mfma_f32_16x16x32_fp8_fp8 v[52:55], a[16:17], v[20:21], 0// 000000006054: D3F30034 0A022910
	v_mfma_f32_16x16x32_fp8_fp8 v[52:55], a[18:19], v[22:23], v[52:55]// 00000000605C: D3F30034 0CD22D12
	v_mfma_f32_16x16x32_fp8_fp8 v[52:55], a[20:21], v[24:25], v[52:55]// 000000006064: D3F30034 0CD23114
	buffer_load_dwordx4 a[56:59], v200, s[12:15], 0 offen offset:3072// 00000000606C: E05C1C00 808338C8
	v_mfma_f32_16x16x32_fp8_fp8 v[52:55], a[22:23], v[26:27], v[52:55]// 000000006074: D3F30034 0CD23516
	v_mfma_f32_16x16x32_fp8_fp8 v[56:59], a[24:25], v[20:21], 0// 00000000607C: D3F30038 0A022918
	v_mfma_f32_16x16x32_fp8_fp8 v[56:59], a[26:27], v[22:23], v[56:59]// 000000006084: D3F30038 0CE22D1A
	v_mfma_f32_16x16x32_fp8_fp8 v[56:59], a[28:29], v[24:25], v[56:59]// 00000000608C: D3F30038 0CE2311C
	buffer_load_dwordx4 a[60:63], v201, s[12:15], 0 offen offset:3072// 000000006094: E05C1C00 80833CC9
	v_mfma_f32_16x16x32_fp8_fp8 v[56:59], a[30:31], v[26:27], v[56:59]// 00000000609C: D3F30038 0CE2351E
	s_waitcnt vmcnt(16)                                        // 0000000060A4: BF8C4F70
	v_pk_mul_f32 v[28:29], v[124:125], v[28:29]                // 0000000060A8: D3B1401C 1802397C
	v_pk_mul_f32 v[30:31], v[124:125], v[30:31]                // 0000000060B0: D3B1401E 18023D7C
	v_mul_f32_dpp v28, v128, v28 row_newbcast:0 row_mask:0xf bank_mask:0xf// 0000000060B8: 0A3838FA FF015080
	v_mul_f32_dpp v29, v128, v29 row_newbcast:1 row_mask:0xf bank_mask:0xf// 0000000060C0: 0A3A3AFA FF015180
	v_mul_f32_dpp v30, v128, v30 row_newbcast:2 row_mask:0xf bank_mask:0xf// 0000000060C8: 0A3C3CFA FF015280
	v_mul_f32_dpp v31, v128, v31 row_newbcast:3 row_mask:0xf bank_mask:0xf// 0000000060D0: 0A3E3EFA FF015380
	v_pk_mul_f32 v[32:33], v[124:125], v[32:33]                // 0000000060D8: D3B14020 1802417C
	v_pk_mul_f32 v[34:35], v[124:125], v[34:35]                // 0000000060E0: D3B14022 1802457C
	v_mul_f32_dpp v32, v128, v32 row_newbcast:4 row_mask:0xf bank_mask:0xf// 0000000060E8: 0A4040FA FF015480
	v_mul_f32_dpp v33, v128, v33 row_newbcast:5 row_mask:0xf bank_mask:0xf// 0000000060F0: 0A4242FA FF015580
	v_mul_f32_dpp v34, v128, v34 row_newbcast:6 row_mask:0xf bank_mask:0xf// 0000000060F8: 0A4444FA FF015680
	v_mul_f32_dpp v35, v128, v35 row_newbcast:7 row_mask:0xf bank_mask:0xf// 000000006100: 0A4646FA FF015780
	v_pk_mul_f32 v[36:37], v[124:125], v[36:37]                // 000000006108: D3B14024 1802497C
	v_pk_mul_f32 v[38:39], v[124:125], v[38:39]                // 000000006110: D3B14026 18024D7C
	v_mul_f32_dpp v36, v128, v36 row_newbcast:8 row_mask:0xf bank_mask:0xf// 000000006118: 0A4848FA FF015880
	v_mul_f32_dpp v37, v128, v37 row_newbcast:9 row_mask:0xf bank_mask:0xf// 000000006120: 0A4A4AFA FF015980
	v_mul_f32_dpp v38, v128, v38 row_newbcast:10 row_mask:0xf bank_mask:0xf// 000000006128: 0A4C4CFA FF015A80
	v_mul_f32_dpp v39, v128, v39 row_newbcast:11 row_mask:0xf bank_mask:0xf// 000000006130: 0A4E4EFA FF015B80
	v_pk_mul_f32 v[40:41], v[124:125], v[40:41]                // 000000006138: D3B14028 1802517C
	v_pk_mul_f32 v[42:43], v[124:125], v[42:43]                // 000000006140: D3B1402A 1802557C
	v_mul_f32_dpp v40, v128, v40 row_newbcast:12 row_mask:0xf bank_mask:0xf// 000000006148: 0A5050FA FF015C80
	v_mul_f32_dpp v41, v128, v41 row_newbcast:13 row_mask:0xf bank_mask:0xf// 000000006150: 0A5252FA FF015D80
	v_mul_f32_dpp v42, v128, v42 row_newbcast:14 row_mask:0xf bank_mask:0xf// 000000006158: 0A5454FA FF015E80
	v_mul_f32_dpp v43, v128, v43 row_newbcast:15 row_mask:0xf bank_mask:0xf// 000000006160: 0A5656FA FF015F80
	v_pk_mul_f32 v[44:45], v[126:127], v[44:45]                // 000000006168: D3B1402C 1802597E
	v_pk_mul_f32 v[46:47], v[126:127], v[46:47]                // 000000006170: D3B1402E 18025D7E
	v_mul_f32_dpp v44, v128, v44 row_newbcast:0 row_mask:0xf bank_mask:0xf// 000000006178: 0A5858FA FF015080
	v_mul_f32_dpp v45, v128, v45 row_newbcast:1 row_mask:0xf bank_mask:0xf// 000000006180: 0A5A5AFA FF015180
	v_mul_f32_dpp v46, v128, v46 row_newbcast:2 row_mask:0xf bank_mask:0xf// 000000006188: 0A5C5CFA FF015280
	v_mul_f32_dpp v47, v128, v47 row_newbcast:3 row_mask:0xf bank_mask:0xf// 000000006190: 0A5E5EFA FF015380
	v_pk_mul_f32 v[48:49], v[126:127], v[48:49]                // 000000006198: D3B14030 1802617E
	v_pk_mul_f32 v[50:51], v[126:127], v[50:51]                // 0000000061A0: D3B14032 1802657E
	v_mul_f32_dpp v48, v128, v48 row_newbcast:4 row_mask:0xf bank_mask:0xf// 0000000061A8: 0A6060FA FF015480
	v_mul_f32_dpp v49, v128, v49 row_newbcast:5 row_mask:0xf bank_mask:0xf// 0000000061B0: 0A6262FA FF015580
	v_mul_f32_dpp v50, v128, v50 row_newbcast:6 row_mask:0xf bank_mask:0xf// 0000000061B8: 0A6464FA FF015680
	v_mul_f32_dpp v51, v128, v51 row_newbcast:7 row_mask:0xf bank_mask:0xf// 0000000061C0: 0A6666FA FF015780
	v_pk_mul_f32 v[52:53], v[126:127], v[52:53]                // 0000000061C8: D3B14034 1802697E
	v_pk_mul_f32 v[54:55], v[126:127], v[54:55]                // 0000000061D0: D3B14036 18026D7E
	v_mul_f32_dpp v52, v128, v52 row_newbcast:8 row_mask:0xf bank_mask:0xf// 0000000061D8: 0A6868FA FF015880
	v_mul_f32_dpp v53, v128, v53 row_newbcast:9 row_mask:0xf bank_mask:0xf// 0000000061E0: 0A6A6AFA FF015980
	v_mul_f32_dpp v54, v128, v54 row_newbcast:10 row_mask:0xf bank_mask:0xf// 0000000061E8: 0A6C6CFA FF015A80
	v_mul_f32_dpp v55, v128, v55 row_newbcast:11 row_mask:0xf bank_mask:0xf// 0000000061F0: 0A6E6EFA FF015B80
	v_pk_mul_f32 v[56:57], v[126:127], v[56:57]                // 0000000061F8: D3B14038 1802717E
	v_pk_mul_f32 v[58:59], v[126:127], v[58:59]                // 000000006200: D3B1403A 1802757E
	v_mul_f32_dpp v56, v128, v56 row_newbcast:12 row_mask:0xf bank_mask:0xf// 000000006208: 0A7070FA FF015C80
	v_mul_f32_dpp v57, v128, v57 row_newbcast:13 row_mask:0xf bank_mask:0xf// 000000006210: 0A7272FA FF015D80
	v_mul_f32_dpp v58, v128, v58 row_newbcast:14 row_mask:0xf bank_mask:0xf// 000000006218: 0A7474FA FF015E80
	v_mul_f32_dpp v59, v128, v59 row_newbcast:15 row_mask:0xf bank_mask:0xf// 000000006220: 0A7676FA FF015F80
	v_mov_b32_e32 v148, v28                                    // 000000006228: 7F28031C
	v_max3_f32 v148, v28, v29, v148                            // 00000000622C: D1D30094 06523B1C
	v_max3_f32 v148, v30, v31, v148                            // 000000006234: D1D30094 06523F1E
	v_max3_f32 v148, v32, v33, v148                            // 00000000623C: D1D30094 06524320
	v_max3_f32 v148, v34, v35, v148                            // 000000006244: D1D30094 06524722
	v_max3_f32 v148, v36, v37, v148                            // 00000000624C: D1D30094 06524B24
	v_max3_f32 v148, v38, v39, v148                            // 000000006254: D1D30094 06524F26
	v_max3_f32 v148, v40, v41, v148                            // 00000000625C: D1D30094 06525328
	v_max3_f32 v148, v42, v43, v148                            // 000000006264: D1D30094 0652572A
	v_mov_b32_e32 v149, v44                                    // 00000000626C: 7F2A032C
	v_max3_f32 v149, v44, v45, v149                            // 000000006270: D1D30095 06565B2C
	v_max3_f32 v149, v46, v47, v149                            // 000000006278: D1D30095 06565F2E
	v_max3_f32 v149, v48, v49, v149                            // 000000006280: D1D30095 06566330
	v_max3_f32 v149, v50, v51, v149                            // 000000006288: D1D30095 06566732
	v_max3_f32 v149, v52, v53, v149                            // 000000006290: D1D30095 06566B34
	v_max3_f32 v149, v54, v55, v149                            // 000000006298: D1D30095 06566F36
	v_max3_f32 v149, v56, v57, v149                            // 0000000062A0: D1D30095 06567338
	v_max3_f32 v149, v58, v59, v149                            // 0000000062A8: D1D30095 0656773A
	ds_write_b64 v214, v[148:149]                              // 0000000062B0: D89A0000 000094D6
	v_pk_mul_f32 v[108:109], v[140:141], v[108:109]            // 0000000062B8: D3B1406C 1802D98C
	v_pk_mul_f32 v[110:111], v[140:141], v[110:111]            // 0000000062C0: D3B1406E 1802DD8C
	v_pk_mul_f32 v[112:113], v[140:141], v[112:113]            // 0000000062C8: D3B14070 1802E18C
	v_pk_mul_f32 v[114:115], v[140:141], v[114:115]            // 0000000062D0: D3B14072 1802E58C
	v_pk_mul_f32 v[116:117], v[142:143], v[116:117]            // 0000000062D8: D3B14074 1802E98E
	v_pk_mul_f32 v[118:119], v[142:143], v[118:119]            // 0000000062E0: D3B14076 1802ED8E
	v_pk_mul_f32 v[120:121], v[142:143], v[120:121]            // 0000000062E8: D3B14078 1802F18E
	v_pk_mul_f32 v[122:123], v[142:143], v[122:123]            // 0000000062F0: D3B1407A 1802F58E
	s_waitcnt lgkmcnt(0)                                       // 0000000062F8: BF8CC07F
	s_barrier                                                  // 0000000062FC: BF8A0000
	v_pk_mul_f32 v[92:93], v[132:133], v[92:93]                // 000000006300: D3B1405C 1802B984
	v_pk_mul_f32 v[94:95], v[132:133], v[94:95]                // 000000006308: D3B1405E 1802BD84
	v_pk_mul_f32 v[96:97], v[132:133], v[96:97]                // 000000006310: D3B14060 1802C184
	v_pk_mul_f32 v[98:99], v[132:133], v[98:99]                // 000000006318: D3B14062 1802C584
	v_pk_mul_f32 v[100:101], v[134:135], v[100:101]            // 000000006320: D3B14064 1802C986
	v_pk_mul_f32 v[102:103], v[134:135], v[102:103]            // 000000006328: D3B14066 1802CD86
	v_pk_mul_f32 v[104:105], v[134:135], v[104:105]            // 000000006330: D3B14068 1802D186
	v_pk_mul_f32 v[106:107], v[134:135], v[106:107]            // 000000006338: D3B1406A 1802D586
	ds_read_b64 v[152:153], v215                               // 000000006340: D8EC0000 980000D7
	ds_read_b64 v[154:155], v215 offset:128                    // 000000006348: D8EC0080 9A0000D7
	ds_read_b64 v[156:157], v215 offset:256                    // 000000006350: D8EC0100 9C0000D7
	ds_read_b64 v[158:159], v215 offset:384                    // 000000006358: D8EC0180 9E0000D7
	ds_read_b64 v[160:161], v215 offset:512                    // 000000006360: D8EC0200 A00000D7
	ds_read_b64 v[162:163], v215 offset:640                    // 000000006368: D8EC0280 A20000D7
	ds_read_b64 v[164:165], v215 offset:768                    // 000000006370: D8EC0300 A40000D7
	ds_read_b64 v[166:167], v215 offset:896                    // 000000006378: D8EC0380 A60000D7
	ds_read_b64 v[168:169], v215 offset:1024                   // 000000006380: D8EC0400 A80000D7
	ds_read_b64 v[170:171], v215 offset:1152                   // 000000006388: D8EC0480 AA0000D7
	ds_read_b64 v[172:173], v215 offset:1280                   // 000000006390: D8EC0500 AC0000D7
	ds_read_b64 v[174:175], v215 offset:1408                   // 000000006398: D8EC0580 AE0000D7
	ds_read_b64 v[176:177], v215 offset:1536                   // 0000000063A0: D8EC0600 B00000D7
	ds_read_b64 v[178:179], v215 offset:1664                   // 0000000063A8: D8EC0680 B20000D7
	ds_read_b64 v[180:181], v215 offset:1792                   // 0000000063B0: D8EC0700 B40000D7
	ds_read_b64 v[182:183], v215 offset:1920                   // 0000000063B8: D8EC0780 B60000D7
	s_waitcnt lgkmcnt(0)                                       // 0000000063C0: BF8CC07F
	v_max3_f32 v148, v152, v154, v148                          // 0000000063C4: D1D30094 06533598
	v_max3_f32 v149, v153, v155, v149                          // 0000000063CC: D1D30095 06573799
	v_max3_f32 v148, v156, v158, v148                          // 0000000063D4: D1D30094 06533D9C
	v_max3_f32 v149, v157, v159, v149                          // 0000000063DC: D1D30095 06573F9D
	v_max3_f32 v148, v160, v162, v148                          // 0000000063E4: D1D30094 065345A0
	v_max3_f32 v149, v161, v163, v149                          // 0000000063EC: D1D30095 065747A1
	v_max3_f32 v148, v164, v166, v148                          // 0000000063F4: D1D30094 06534DA4
	v_max3_f32 v149, v165, v167, v149                          // 0000000063FC: D1D30095 06574FA5
	v_max3_f32 v148, v168, v170, v148                          // 000000006404: D1D30094 065355A8
	v_max3_f32 v149, v169, v171, v149                          // 00000000640C: D1D30095 065757A9
	v_max3_f32 v148, v172, v174, v148                          // 000000006414: D1D30094 06535DAC
	v_max3_f32 v149, v173, v175, v149                          // 00000000641C: D1D30095 06575FAD
	v_max3_f32 v148, v176, v178, v148                          // 000000006424: D1D30094 065365B0
	v_max3_f32 v149, v177, v179, v149                          // 00000000642C: D1D30095 065767B1
	v_max3_f32 v148, v180, v182, v148                          // 000000006434: D1D30094 06536DB4
	v_max3_f32 v149, v181, v183, v149                          // 00000000643C: D1D30095 06576FB5
	v_max_f32_e32 v138, v148, v136                             // 000000006444: 17151194
	v_mul_f32_e64 v184, -s51, v138                             // 000000006448: D10500B8 20031433
	v_mov_b32_e32 v185, v184                                   // 000000006450: 7F7203B8
	v_pk_fma_f32 v[28:29], v[28:29], s[68:69], v[184:185]      // 000000006454: D3B0401C 1EE0891C
	v_pk_fma_f32 v[30:31], v[30:31], s[68:69], v[184:185]      // 00000000645C: D3B0401E 1EE0891E
	v_exp_f32_e32 v28, v28                                     // 000000006464: 7E38411C
	v_exp_f32_e32 v29, v29                                     // 000000006468: 7E3A411D
	v_exp_f32_e32 v30, v30                                     // 00000000646C: 7E3C411E
	v_exp_f32_e32 v31, v31                                     // 000000006470: 7E3E411F
	v_pk_fma_f32 v[32:33], v[32:33], s[68:69], v[184:185]      // 000000006474: D3B04020 1EE08920
	v_pk_fma_f32 v[34:35], v[34:35], s[68:69], v[184:185]      // 00000000647C: D3B04022 1EE08922
	v_exp_f32_e32 v32, v32                                     // 000000006484: 7E404120
	v_exp_f32_e32 v33, v33                                     // 000000006488: 7E424121
	v_exp_f32_e32 v34, v34                                     // 00000000648C: 7E444122
	v_exp_f32_e32 v35, v35                                     // 000000006490: 7E464123
	v_pk_fma_f32 v[36:37], v[36:37], s[68:69], v[184:185]      // 000000006494: D3B04024 1EE08924
	v_pk_fma_f32 v[38:39], v[38:39], s[68:69], v[184:185]      // 00000000649C: D3B04026 1EE08926
	v_exp_f32_e32 v36, v36                                     // 0000000064A4: 7E484124
	v_exp_f32_e32 v37, v37                                     // 0000000064A8: 7E4A4125
	v_exp_f32_e32 v38, v38                                     // 0000000064AC: 7E4C4126
	v_exp_f32_e32 v39, v39                                     // 0000000064B0: 7E4E4127
	v_pk_fma_f32 v[40:41], v[40:41], s[68:69], v[184:185]      // 0000000064B4: D3B04028 1EE08928
	v_pk_fma_f32 v[42:43], v[42:43], s[68:69], v[184:185]      // 0000000064BC: D3B0402A 1EE0892A
	v_exp_f32_e32 v40, v40                                     // 0000000064C4: 7E504128
	v_exp_f32_e32 v41, v41                                     // 0000000064C8: 7E524129
	v_exp_f32_e32 v42, v42                                     // 0000000064CC: 7E54412A
	v_exp_f32_e32 v43, v43                                     // 0000000064D0: 7E56412B
	v_max_f32_e32 v139, v149, v137                             // 0000000064D4: 17171395
	v_mul_f32_e64 v184, -s51, v139                             // 0000000064D8: D10500B8 20031633
	v_mov_b32_e32 v185, v184                                   // 0000000064E0: 7F7203B8
	v_pk_fma_f32 v[44:45], v[44:45], s[68:69], v[184:185]      // 0000000064E4: D3B0402C 1EE0892C
	v_pk_fma_f32 v[46:47], v[46:47], s[68:69], v[184:185]      // 0000000064EC: D3B0402E 1EE0892E
	v_exp_f32_e32 v44, v44                                     // 0000000064F4: 7E58412C
	v_exp_f32_e32 v45, v45                                     // 0000000064F8: 7E5A412D
	v_exp_f32_e32 v46, v46                                     // 0000000064FC: 7E5C412E
	v_exp_f32_e32 v47, v47                                     // 000000006500: 7E5E412F
	v_pk_fma_f32 v[48:49], v[48:49], s[68:69], v[184:185]      // 000000006504: D3B04030 1EE08930
	v_pk_fma_f32 v[50:51], v[50:51], s[68:69], v[184:185]      // 00000000650C: D3B04032 1EE08932
	v_exp_f32_e32 v48, v48                                     // 000000006514: 7E604130
	v_exp_f32_e32 v49, v49                                     // 000000006518: 7E624131
	v_exp_f32_e32 v50, v50                                     // 00000000651C: 7E644132
	v_exp_f32_e32 v51, v51                                     // 000000006520: 7E664133
	v_pk_fma_f32 v[52:53], v[52:53], s[68:69], v[184:185]      // 000000006524: D3B04034 1EE08934
	v_pk_fma_f32 v[54:55], v[54:55], s[68:69], v[184:185]      // 00000000652C: D3B04036 1EE08936
	v_exp_f32_e32 v52, v52                                     // 000000006534: 7E684134
	v_exp_f32_e32 v53, v53                                     // 000000006538: 7E6A4135
	v_exp_f32_e32 v54, v54                                     // 00000000653C: 7E6C4136
	v_exp_f32_e32 v55, v55                                     // 000000006540: 7E6E4137
	v_pk_fma_f32 v[56:57], v[56:57], s[68:69], v[184:185]      // 000000006544: D3B04038 1EE08938
	v_pk_fma_f32 v[58:59], v[58:59], s[68:69], v[184:185]      // 00000000654C: D3B0403A 1EE0893A
	v_exp_f32_e32 v56, v56                                     // 000000006554: 7E704138
	v_exp_f32_e32 v57, v57                                     // 000000006558: 7E724139
	v_exp_f32_e32 v58, v58                                     // 00000000655C: 7E74413A
	v_exp_f32_e32 v59, v59                                     // 000000006560: 7E76413B
	v_mul_f32_dpp v60, v130, v28 row_newbcast:0 row_mask:0xf bank_mask:0xf// 000000006564: 0A7838FA FF015082
	v_mul_f32_dpp v61, v130, v29 row_newbcast:1 row_mask:0xf bank_mask:0xf// 00000000656C: 0A7A3AFA FF015182
	v_mul_f32_dpp v62, v130, v30 row_newbcast:2 row_mask:0xf bank_mask:0xf// 000000006574: 0A7C3CFA FF015282
	v_mul_f32_dpp v63, v130, v31 row_newbcast:3 row_mask:0xf bank_mask:0xf// 00000000657C: 0A7E3EFA FF015382
	v_mul_f32_dpp v64, v130, v32 row_newbcast:4 row_mask:0xf bank_mask:0xf// 000000006584: 0A8040FA FF015482
	v_mul_f32_dpp v65, v130, v33 row_newbcast:5 row_mask:0xf bank_mask:0xf// 00000000658C: 0A8242FA FF015582
	v_mul_f32_dpp v66, v130, v34 row_newbcast:6 row_mask:0xf bank_mask:0xf// 000000006594: 0A8444FA FF015682
	v_mul_f32_dpp v67, v130, v35 row_newbcast:7 row_mask:0xf bank_mask:0xf// 00000000659C: 0A8646FA FF015782
	v_mul_f32_dpp v68, v130, v36 row_newbcast:8 row_mask:0xf bank_mask:0xf// 0000000065A4: 0A8848FA FF015882
	v_mul_f32_dpp v69, v130, v37 row_newbcast:9 row_mask:0xf bank_mask:0xf// 0000000065AC: 0A8A4AFA FF015982
	v_mul_f32_dpp v70, v130, v38 row_newbcast:10 row_mask:0xf bank_mask:0xf// 0000000065B4: 0A8C4CFA FF015A82
	v_mul_f32_dpp v71, v130, v39 row_newbcast:11 row_mask:0xf bank_mask:0xf// 0000000065BC: 0A8E4EFA FF015B82
	v_mul_f32_dpp v72, v130, v40 row_newbcast:12 row_mask:0xf bank_mask:0xf// 0000000065C4: 0A9050FA FF015C82
	v_mul_f32_dpp v73, v130, v41 row_newbcast:13 row_mask:0xf bank_mask:0xf// 0000000065CC: 0A9252FA FF015D82
	v_mul_f32_dpp v74, v130, v42 row_newbcast:14 row_mask:0xf bank_mask:0xf// 0000000065D4: 0A9454FA FF015E82
	v_mul_f32_dpp v75, v130, v43 row_newbcast:15 row_mask:0xf bank_mask:0xf// 0000000065DC: 0A9656FA FF015F82
	v_mul_f32_dpp v76, v130, v44 row_newbcast:0 row_mask:0xf bank_mask:0xf// 0000000065E4: 0A9858FA FF015082
	v_mul_f32_dpp v77, v130, v45 row_newbcast:1 row_mask:0xf bank_mask:0xf// 0000000065EC: 0A9A5AFA FF015182
	v_mul_f32_dpp v78, v130, v46 row_newbcast:2 row_mask:0xf bank_mask:0xf// 0000000065F4: 0A9C5CFA FF015282
	v_mul_f32_dpp v79, v130, v47 row_newbcast:3 row_mask:0xf bank_mask:0xf// 0000000065FC: 0A9E5EFA FF015382
	v_mul_f32_dpp v80, v130, v48 row_newbcast:4 row_mask:0xf bank_mask:0xf// 000000006604: 0AA060FA FF015482
	v_mul_f32_dpp v81, v130, v49 row_newbcast:5 row_mask:0xf bank_mask:0xf// 00000000660C: 0AA262FA FF015582
	v_mul_f32_dpp v82, v130, v50 row_newbcast:6 row_mask:0xf bank_mask:0xf// 000000006614: 0AA464FA FF015682
	v_mul_f32_dpp v83, v130, v51 row_newbcast:7 row_mask:0xf bank_mask:0xf// 00000000661C: 0AA666FA FF015782
	v_mul_f32_dpp v84, v130, v52 row_newbcast:8 row_mask:0xf bank_mask:0xf// 000000006624: 0AA868FA FF015882
	v_mul_f32_dpp v85, v130, v53 row_newbcast:9 row_mask:0xf bank_mask:0xf// 00000000662C: 0AAA6AFA FF015982
	v_mul_f32_dpp v86, v130, v54 row_newbcast:10 row_mask:0xf bank_mask:0xf// 000000006634: 0AAC6CFA FF015A82
	v_mul_f32_dpp v87, v130, v55 row_newbcast:11 row_mask:0xf bank_mask:0xf// 00000000663C: 0AAE6EFA FF015B82
	v_mul_f32_dpp v88, v130, v56 row_newbcast:12 row_mask:0xf bank_mask:0xf// 000000006644: 0AB070FA FF015C82
	v_mul_f32_dpp v89, v130, v57 row_newbcast:13 row_mask:0xf bank_mask:0xf// 00000000664C: 0AB272FA FF015D82
	v_mul_f32_dpp v90, v130, v58 row_newbcast:14 row_mask:0xf bank_mask:0xf// 000000006654: 0AB474FA FF015E82
	v_mul_f32_dpp v91, v130, v59 row_newbcast:15 row_mask:0xf bank_mask:0xf// 00000000665C: 0AB676FA FF015F82
	v_mov_b32_e32 v148, 0x358637bd                             // 000000006664: 7F2802FF 358637BD
	v_max3_f32 v148, |v60|, |v61|, v148                        // 00000000666C: D1D30394 06527B3C
	v_max3_f32 v148, |v62|, |v63|, v148                        // 000000006674: D1D30394 06527F3E
	v_max3_f32 v148, |v64|, |v65|, v148                        // 00000000667C: D1D30394 06528340
	v_max3_f32 v148, |v66|, |v67|, v148                        // 000000006684: D1D30394 06528742
	v_max3_f32 v148, |v68|, |v69|, v148                        // 00000000668C: D1D30394 06528B44
	v_max3_f32 v148, |v70|, |v71|, v148                        // 000000006694: D1D30394 06528F46
	v_max3_f32 v148, |v72|, |v73|, v148                        // 00000000669C: D1D30394 06529348
	v_max3_f32 v148, |v74|, |v75|, v148                        // 0000000066A4: D1D30394 0652974A
	v_mov_b32_e32 v149, 0x358637bd                             // 0000000066AC: 7F2A02FF 358637BD
	v_max3_f32 v149, |v76|, |v77|, v149                        // 0000000066B4: D1D30395 06569B4C
	v_max3_f32 v149, |v78|, |v79|, v149                        // 0000000066BC: D1D30395 06569F4E
	v_max3_f32 v149, |v80|, |v81|, v149                        // 0000000066C4: D1D30395 0656A350
	v_max3_f32 v149, |v82|, |v83|, v149                        // 0000000066CC: D1D30395 0656A752
	v_max3_f32 v149, |v84|, |v85|, v149                        // 0000000066D4: D1D30395 0656AB54
	v_max3_f32 v149, |v86|, |v87|, v149                        // 0000000066DC: D1D30395 0656AF56
	v_max3_f32 v149, |v88|, |v89|, v149                        // 0000000066E4: D1D30395 0656B358
	v_max3_f32 v149, |v90|, |v91|, v149                        // 0000000066EC: D1D30395 0656B75A
	ds_write_b64 v214, v[148:149] offset:2304                  // 0000000066F4: D89A0900 000094D6
	buffer_load_dword v129, v206, s[28:31], 0 offen            // 0000000066FC: E0501000 800781CE
	v_sub_f32_e32 v140, v136, v138                             // 000000006704: 05191588
	v_cmp_eq_u32_e64 s[92:93], v195, v136                      // 000000006708: D0CA005C 000311C3
	s_nop 0                                                    // 000000006710: BF800000
	v_cndmask_b32_e64 v140, v140, 0, s[92:93]                  // 000000006714: D100008C 0171018C
	v_mov_b32_e32 v136, v138                                   // 00000000671C: 7F10038A
	v_mul_f32_e32 v140, s51, v140                              // 000000006720: 0B191833
	v_exp_f32_e32 v140, v140                                   // 000000006724: 7F18418C
	v_sub_f32_e32 v142, v137, v139                             // 000000006728: 051D1789
	v_cmp_eq_u32_e64 s[92:93], v195, v137                      // 00000000672C: D0CA005C 000313C3
	s_nop 0                                                    // 000000006734: BF800000
	v_cndmask_b32_e64 v142, v142, 0, s[92:93]                  // 000000006738: D100008E 0171018E
	v_mov_b32_e32 v137, v139                                   // 000000006740: 7F12038B
	v_mul_f32_e32 v142, s51, v142                              // 000000006744: 0B1D1C33
	v_exp_f32_e32 v142, v142                                   // 000000006748: 7F1C418E
	v_mov_b32_e32 v141, v140                                   // 00000000674C: 7F1A038C
	v_mov_b32_e32 v143, v142                                   // 000000006750: 7F1E038E
	buffer_load_dword v131, v207, s[32:35], 0 offen            // 000000006754: E0501000 800883CF
	s_waitcnt lgkmcnt(0)                                       // 00000000675C: BF8CC07F
	s_barrier                                                  // 000000006760: BF8A0000
	v_mul_f32_e32 v144, v140, v144                             // 000000006764: 0B21218C
	v_add_f32_e32 v144, v28, v144                              // 000000006768: 0321211C
	v_add_f32_e32 v144, v29, v144                              // 00000000676C: 0321211D
	v_add_f32_e32 v144, v30, v144                              // 000000006770: 0321211E
	v_add_f32_e32 v144, v31, v144                              // 000000006774: 0321211F
	v_add_f32_e32 v144, v32, v144                              // 000000006778: 03212120
	v_add_f32_e32 v144, v33, v144                              // 00000000677C: 03212121
	v_add_f32_e32 v144, v34, v144                              // 000000006780: 03212122
	v_add_f32_e32 v144, v35, v144                              // 000000006784: 03212123
	;; [unrolled: 1-line block ×3, first 2 shown]
	v_add_f32_e32 v144, v37, v144                              // 00000000678C: 03212125
	v_add_f32_e32 v144, v38, v144                              // 000000006790: 03212126
	v_add_f32_e32 v144, v39, v144                              // 000000006794: 03212127
	;; [unrolled: 1-line block ×3, first 2 shown]
	v_add_f32_e32 v144, v41, v144                              // 00000000679C: 03212129
	v_add_f32_e32 v144, v42, v144                              // 0000000067A0: 0321212A
	v_add_f32_e32 v144, v43, v144                              // 0000000067A4: 0321212B
	v_mul_f32_e32 v145, v142, v145                             // 0000000067A8: 0B23238E
	v_add_f32_e32 v145, v44, v145                              // 0000000067AC: 0323232C
	v_add_f32_e32 v145, v45, v145                              // 0000000067B0: 0323232D
	v_add_f32_e32 v145, v46, v145                              // 0000000067B4: 0323232E
	v_add_f32_e32 v145, v47, v145                              // 0000000067B8: 0323232F
	v_add_f32_e32 v145, v48, v145                              // 0000000067BC: 03232330
	v_add_f32_e32 v145, v49, v145                              // 0000000067C0: 03232331
	v_add_f32_e32 v145, v50, v145                              // 0000000067C4: 03232332
	v_add_f32_e32 v145, v51, v145                              // 0000000067C8: 03232333
	v_add_f32_e32 v145, v52, v145                              // 0000000067CC: 03232334
	v_add_f32_e32 v145, v53, v145                              // 0000000067D0: 03232335
	v_add_f32_e32 v145, v54, v145                              // 0000000067D4: 03232336
	v_add_f32_e32 v145, v55, v145                              // 0000000067D8: 03232337
	v_add_f32_e32 v145, v56, v145                              // 0000000067DC: 03232338
	v_add_f32_e32 v145, v57, v145                              // 0000000067E0: 03232339
	v_add_f32_e32 v145, v58, v145                              // 0000000067E4: 0323233A
	v_add_f32_e32 v145, v59, v145                              // 0000000067E8: 0323233B
	ds_read_b64 v[152:153], v215 offset:2304                   // 0000000067EC: D8EC0900 980000D7
	ds_read_b64 v[154:155], v215 offset:2432                   // 0000000067F4: D8EC0980 9A0000D7
	ds_read_b64 v[156:157], v215 offset:2560                   // 0000000067FC: D8EC0A00 9C0000D7
	ds_read_b64 v[158:159], v215 offset:2688                   // 000000006804: D8EC0A80 9E0000D7
	ds_read_b64 v[160:161], v215 offset:2816                   // 00000000680C: D8EC0B00 A00000D7
	ds_read_b64 v[162:163], v215 offset:2944                   // 000000006814: D8EC0B80 A20000D7
	ds_read_b64 v[164:165], v215 offset:3072                   // 00000000681C: D8EC0C00 A40000D7
	ds_read_b64 v[166:167], v215 offset:3200                   // 000000006824: D8EC0C80 A60000D7
	ds_read_b64 v[168:169], v215 offset:3328                   // 00000000682C: D8EC0D00 A80000D7
	ds_read_b64 v[170:171], v215 offset:3456                   // 000000006834: D8EC0D80 AA0000D7
	ds_read_b64 v[172:173], v215 offset:3584                   // 00000000683C: D8EC0E00 AC0000D7
	ds_read_b64 v[174:175], v215 offset:3712                   // 000000006844: D8EC0E80 AE0000D7
	ds_read_b64 v[176:177], v215 offset:3840                   // 00000000684C: D8EC0F00 B00000D7
	ds_read_b64 v[178:179], v215 offset:3968                   // 000000006854: D8EC0F80 B20000D7
	ds_read_b64 v[180:181], v215 offset:4096                   // 00000000685C: D8EC1000 B40000D7
	ds_read_b64 v[182:183], v215 offset:4224                   // 000000006864: D8EC1080 B60000D7
	s_waitcnt lgkmcnt(0)                                       // 00000000686C: BF8CC07F
	v_max3_f32 v148, v152, v154, v148                          // 000000006870: D1D30094 06533598
	v_max3_f32 v149, v153, v155, v149                          // 000000006878: D1D30095 06573799
	v_max3_f32 v148, v156, v158, v148                          // 000000006880: D1D30094 06533D9C
	v_max3_f32 v149, v157, v159, v149                          // 000000006888: D1D30095 06573F9D
	v_max3_f32 v148, v160, v162, v148                          // 000000006890: D1D30094 065345A0
	v_max3_f32 v149, v161, v163, v149                          // 000000006898: D1D30095 065747A1
	v_max3_f32 v148, v164, v166, v148                          // 0000000068A0: D1D30094 06534DA4
	v_max3_f32 v149, v165, v167, v149                          // 0000000068A8: D1D30095 06574FA5
	v_max3_f32 v148, v168, v170, v148                          // 0000000068B0: D1D30094 065355A8
	v_max3_f32 v149, v169, v171, v149                          // 0000000068B8: D1D30095 065757A9
	v_max3_f32 v148, v172, v174, v148                          // 0000000068C0: D1D30094 06535DAC
	v_max3_f32 v149, v173, v175, v149                          // 0000000068C8: D1D30095 06575FAD
	v_max3_f32 v148, v176, v178, v148                          // 0000000068D0: D1D30094 065365B0
	v_max3_f32 v149, v177, v179, v149                          // 0000000068D8: D1D30095 065767B1
	v_max3_f32 v148, v180, v182, v148                          // 0000000068E0: D1D30094 06536DB4
	v_max3_f32 v149, v181, v183, v149                          // 0000000068E8: D1D30095 06576FB5
	v_rcp_f32_e32 v148, v148                                   // 0000000068F0: 7F284594
	v_rcp_f32_e32 v149, v149                                   // 0000000068F4: 7F2A4595
	v_mul_f32_e32 v148, 0x43700000, v148                       // 0000000068F8: 0B2928FF 43700000
	v_mul_f32_e32 v149, 0x43700000, v149                       // 000000006900: 0B2B2AFF 43700000
	v_mov_b32_e32 v150, v149                                   // 000000006908: 7F2C0395
	v_mov_b32_e32 v151, v149                                   // 00000000690C: 7F2E0395
	v_mov_b32_e32 v149, v148                                   // 000000006910: 7F2A0394
	v_pk_mul_f32 v[28:29], v[148:149], v[60:61]                // 000000006914: D3B1401C 18027994
	v_pk_mul_f32 v[30:31], v[148:149], v[62:63]                // 00000000691C: D3B1401E 18027D94
	v_pk_mul_f32 v[32:33], v[148:149], v[64:65]                // 000000006924: D3B14020 18028194
	v_pk_mul_f32 v[34:35], v[148:149], v[66:67]                // 00000000692C: D3B14022 18028594
	v_pk_mul_f32 v[36:37], v[148:149], v[68:69]                // 000000006934: D3B14024 18028994
	v_pk_mul_f32 v[38:39], v[148:149], v[70:71]                // 00000000693C: D3B14026 18028D94
	v_pk_mul_f32 v[40:41], v[148:149], v[72:73]                // 000000006944: D3B14028 18029194
	v_pk_mul_f32 v[42:43], v[148:149], v[74:75]                // 00000000694C: D3B1402A 18029594
	v_pk_mul_f32 v[44:45], v[150:151], v[76:77]                // 000000006954: D3B1402C 18029996
	v_pk_mul_f32 v[46:47], v[150:151], v[78:79]                // 00000000695C: D3B1402E 18029D96
	v_pk_mul_f32 v[48:49], v[150:151], v[80:81]                // 000000006964: D3B14030 1802A196
	v_pk_mul_f32 v[50:51], v[150:151], v[82:83]                // 00000000696C: D3B14032 1802A596
	v_pk_mul_f32 v[52:53], v[150:151], v[84:85]                // 000000006974: D3B14034 1802A996
	v_pk_mul_f32 v[54:55], v[150:151], v[86:87]                // 00000000697C: D3B14036 1802AD96
	v_pk_mul_f32 v[56:57], v[150:151], v[88:89]                // 000000006984: D3B14038 1802B196
	v_pk_mul_f32 v[58:59], v[150:151], v[90:91]                // 00000000698C: D3B1403A 1802B596
	v_cvt_pk_fp8_f32 v28, v28, v29                             // 000000006994: D2A2001C 00023B1C
	v_cvt_pk_fp8_f32 v28, v30, v31 op_sel:[0,0,1]              // 00000000699C: D2A2401C 00023F1E
	v_cvt_pk_fp8_f32 v29, v32, v33                             // 0000000069A4: D2A2001D 00024320
	v_cvt_pk_fp8_f32 v29, v34, v35 op_sel:[0,0,1]              // 0000000069AC: D2A2401D 00024722
	v_cvt_pk_fp8_f32 v30, v36, v37                             // 0000000069B4: D2A2001E 00024B24
	v_cvt_pk_fp8_f32 v30, v38, v39 op_sel:[0,0,1]              // 0000000069BC: D2A2401E 00024F26
	v_cvt_pk_fp8_f32 v31, v40, v41                             // 0000000069C4: D2A2001F 00025328
	v_cvt_pk_fp8_f32 v31, v42, v43 op_sel:[0,0,1]              // 0000000069CC: D2A2401F 0002572A
	v_cvt_pk_fp8_f32 v32, v44, v45                             // 0000000069D4: D2A20020 00025B2C
	v_cvt_pk_fp8_f32 v32, v46, v47 op_sel:[0,0,1]              // 0000000069DC: D2A24020 00025F2E
	v_cvt_pk_fp8_f32 v33, v48, v49                             // 0000000069E4: D2A20021 00026330
	v_cvt_pk_fp8_f32 v33, v50, v51 op_sel:[0,0,1]              // 0000000069EC: D2A24021 00026732
	v_cvt_pk_fp8_f32 v34, v52, v53                             // 0000000069F4: D2A20022 00026B34
	v_cvt_pk_fp8_f32 v34, v54, v55 op_sel:[0,0,1]              // 0000000069FC: D2A24022 00026F36
	v_cvt_pk_fp8_f32 v35, v56, v57                             // 000000006A04: D2A20023 00027338
	v_cvt_pk_fp8_f32 v35, v58, v59 op_sel:[0,0,1]              // 000000006A0C: D2A24023 0002773A
	ds_write_b32 v216, v28 offset:4608                         // 000000006A14: D81A1200 00001CD8
	ds_write_b32 v216, v29 offset:5632                         // 000000006A1C: D81A1600 00001DD8
	ds_write_b32 v216, v30 offset:6656                         // 000000006A24: D81A1A00 00001ED8
	ds_write_b32 v216, v31 offset:7680                         // 000000006A2C: D81A1E00 00001FD8
	ds_write_b32 v216, v32 offset:8704                         // 000000006A34: D81A2200 000020D8
	ds_write_b32 v216, v33 offset:9728                         // 000000006A3C: D81A2600 000021D8
	ds_write_b32 v216, v34 offset:10752                        // 000000006A44: D81A2A00 000022D8
	ds_write_b32 v216, v35 offset:11776                        // 000000006A4C: D81A2E00 000023D8
	v_rcp_f32_e32 v132, v148                                   // 000000006A54: 7F084594
	v_rcp_f32_e32 v134, v150                                   // 000000006A58: 7F0C4596
	v_mov_b32_e32 v133, v132                                   // 000000006A5C: 7F0A0384
	v_mov_b32_e32 v135, v134                                   // 000000006A60: 7F0E0386
	v_pk_add_f32 v[108:109], v[108:109], v[92:93]              // 000000006A64: D3B2406C 1802B96C
	v_pk_add_f32 v[110:111], v[110:111], v[94:95]              // 000000006A6C: D3B2406E 1802BD6E
	v_pk_add_f32 v[112:113], v[112:113], v[96:97]              // 000000006A74: D3B24070 1802C170
	v_pk_add_f32 v[114:115], v[114:115], v[98:99]              // 000000006A7C: D3B24072 1802C572
	v_pk_add_f32 v[116:117], v[116:117], v[100:101]            // 000000006A84: D3B24074 1802C974
	v_pk_add_f32 v[118:119], v[118:119], v[102:103]            // 000000006A8C: D3B24076 1802CD76
	v_pk_add_f32 v[120:121], v[120:121], v[104:105]            // 000000006A94: D3B24078 1802D178
	v_pk_add_f32 v[122:123], v[122:123], v[106:107]            // 000000006A9C: D3B2407A 1802D57A
	s_waitcnt lgkmcnt(0)                                       // 000000006AA4: BF8CC07F
	s_barrier                                                  // 000000006AA8: BF8A0000
	ds_read_b128 v[28:31], v217 offset:4608                    // 000000006AAC: D9FE1200 1C0000D9
	ds_read_b128 v[32:35], v217 offset:5632                    // 000000006AB4: D9FE1600 200000D9
	ds_read_b128 v[36:39], v217 offset:6656                    // 000000006ABC: D9FE1A00 240000D9
	ds_read_b128 v[40:43], v217 offset:7680                    // 000000006AC4: D9FE1E00 280000D9
	ds_read_b128 v[44:47], v217 offset:8704                    // 000000006ACC: D9FE2200 2C0000D9
	ds_read_b128 v[48:51], v217 offset:9728                    // 000000006AD4: D9FE2600 300000D9
	ds_read_b128 v[52:55], v217 offset:10752                   // 000000006ADC: D9FE2A00 340000D9
	ds_read_b128 v[56:59], v217 offset:11776                   // 000000006AE4: D9FE2E00 380000D9
	s_waitcnt vmcnt(10)                                        // 000000006AEC: BF8C0F7A
	s_waitcnt lgkmcnt(7)                                       // 000000006AF0: BF8CC77F
	v_mfma_f32_16x16x32_fp8_fp8 v[92:95], a[64:65], v[28:29], 0// 000000006AF4: D3F3005C 0A023940
	s_addk_i32 s62, 0x1                                        // 000000006AFC: B73E0001
	v_mfma_f32_16x16x32_fp8_fp8 v[96:99], a[80:81], v[28:29], 0// 000000006B00: D3F30060 0A023950
	s_cmp_lt_u32 s62, s52                                      // 000000006B08: BF0A343E
	s_cselect_b32 s63, 4, 0                                    // 000000006B0C: 853F8084
	v_mfma_f32_16x16x32_fp8_fp8 v[92:95], a[66:67], v[30:31], v[92:95]// 000000006B10: D3F3005C 0D723D42
	buffer_load_dwordx4 a[96:99], v202, s[16:19], 0 offen      // 000000006B18: E05C1000 808460CA
	v_mfma_f32_16x16x32_fp8_fp8 v[96:99], a[82:83], v[30:31], v[96:99]// 000000006B20: D3F30060 0D823D52
	s_add_u32 s20, s20, s63                                    // 000000006B28: 80143F14
	s_addc_u32 s21, s21, 0                                     // 000000006B2C: 82158015
	s_waitcnt lgkmcnt(6)                                       // 000000006B30: BF8CC67F
	v_mfma_f32_16x16x32_fp8_fp8 v[92:95], a[68:69], v[32:33], v[92:95]// 000000006B34: D3F3005C 0D724144
	v_mfma_f32_16x16x32_fp8_fp8 v[96:99], a[84:85], v[32:33], v[96:99]// 000000006B3C: D3F30060 0D824154
	v_mfma_f32_16x16x32_fp8_fp8 v[92:95], a[70:71], v[34:35], v[92:95]// 000000006B44: D3F3005C 0D724546
	buffer_load_dwordx4 a[100:103], v203, s[16:19], 0 offen    // 000000006B4C: E05C1000 808464CB
	v_mfma_f32_16x16x32_fp8_fp8 v[96:99], a[86:87], v[34:35], v[96:99]// 000000006B54: D3F30060 0D824556
	s_waitcnt lgkmcnt(5)                                       // 000000006B5C: BF8CC57F
	v_mfma_f32_16x16x32_fp8_fp8 v[92:95], a[72:73], v[36:37], v[92:95]// 000000006B60: D3F3005C 0D724948
	v_mfma_f32_16x16x32_fp8_fp8 v[96:99], a[88:89], v[36:37], v[96:99]// 000000006B68: D3F30060 0D824958
	v_mfma_f32_16x16x32_fp8_fp8 v[92:95], a[74:75], v[38:39], v[92:95]// 000000006B70: D3F3005C 0D724D4A
	buffer_load_dwordx4 a[104:107], v204, s[16:19], 0 offen    // 000000006B78: E05C1000 808468CC
	v_mfma_f32_16x16x32_fp8_fp8 v[96:99], a[90:91], v[38:39], v[96:99]// 000000006B80: D3F30060 0D824D5A
	s_waitcnt lgkmcnt(4)                                       // 000000006B88: BF8CC47F
	v_mfma_f32_16x16x32_fp8_fp8 v[92:95], a[76:77], v[40:41], v[92:95]// 000000006B8C: D3F3005C 0D72514C
	v_mfma_f32_16x16x32_fp8_fp8 v[96:99], a[92:93], v[40:41], v[96:99]// 000000006B94: D3F30060 0D82515C
	v_mfma_f32_16x16x32_fp8_fp8 v[92:95], a[78:79], v[42:43], v[92:95]// 000000006B9C: D3F3005C 0D72554E
	buffer_load_dwordx4 a[108:111], v205, s[16:19], 0 offen    // 000000006BA4: E05C1000 80846CCD
	v_mfma_f32_16x16x32_fp8_fp8 v[96:99], a[94:95], v[42:43], v[96:99]// 000000006BAC: D3F30060 0D82555E
	s_waitcnt lgkmcnt(3)                                       // 000000006BB4: BF8CC37F
	v_mfma_f32_16x16x32_fp8_fp8 v[100:103], a[64:65], v[44:45], 0// 000000006BB8: D3F30064 0A025940
	v_mfma_f32_16x16x32_fp8_fp8 v[104:107], a[80:81], v[44:45], 0// 000000006BC0: D3F30068 0A025950
	v_mfma_f32_16x16x32_fp8_fp8 v[100:103], a[66:67], v[46:47], v[100:103]// 000000006BC8: D3F30064 0D925D42
	buffer_load_dwordx4 a[112:115], v202, s[16:19], 0 offen offset:1024// 000000006BD0: E05C1400 808470CA
	v_mfma_f32_16x16x32_fp8_fp8 v[104:107], a[82:83], v[46:47], v[104:107]// 000000006BD8: D3F30068 0DA25D52
	s_waitcnt lgkmcnt(2)                                       // 000000006BE0: BF8CC27F
	v_mfma_f32_16x16x32_fp8_fp8 v[100:103], a[68:69], v[48:49], v[100:103]// 000000006BE4: D3F30064 0D926144
	v_mfma_f32_16x16x32_fp8_fp8 v[104:107], a[84:85], v[48:49], v[104:107]// 000000006BEC: D3F30068 0DA26154
	v_mfma_f32_16x16x32_fp8_fp8 v[100:103], a[70:71], v[50:51], v[100:103]// 000000006BF4: D3F30064 0D926546
	buffer_load_dwordx4 a[116:119], v203, s[16:19], 0 offen offset:1024// 000000006BFC: E05C1400 808474CB
	v_mfma_f32_16x16x32_fp8_fp8 v[104:107], a[86:87], v[50:51], v[104:107]// 000000006C04: D3F30068 0DA26556
	s_waitcnt lgkmcnt(1)                                       // 000000006C0C: BF8CC17F
	v_mfma_f32_16x16x32_fp8_fp8 v[100:103], a[72:73], v[52:53], v[100:103]// 000000006C10: D3F30064 0D926948
	v_mfma_f32_16x16x32_fp8_fp8 v[104:107], a[88:89], v[52:53], v[104:107]// 000000006C18: D3F30068 0DA26958
	v_mfma_f32_16x16x32_fp8_fp8 v[100:103], a[74:75], v[54:55], v[100:103]// 000000006C20: D3F30064 0D926D4A
	buffer_load_dwordx4 a[120:123], v204, s[16:19], 0 offen offset:1024// 000000006C28: E05C1400 808478CC
	v_mfma_f32_16x16x32_fp8_fp8 v[104:107], a[90:91], v[54:55], v[104:107]// 000000006C30: D3F30068 0DA26D5A
	s_waitcnt lgkmcnt(0)                                       // 000000006C38: BF8CC07F
	v_mfma_f32_16x16x32_fp8_fp8 v[100:103], a[76:77], v[56:57], v[100:103]// 000000006C3C: D3F30064 0D92714C
	v_mfma_f32_16x16x32_fp8_fp8 v[104:107], a[92:93], v[56:57], v[104:107]// 000000006C44: D3F30068 0DA2715C
	v_mfma_f32_16x16x32_fp8_fp8 v[100:103], a[78:79], v[58:59], v[100:103]// 000000006C4C: D3F30064 0D92754E
	buffer_load_dwordx4 a[124:127], v205, s[16:19], 0 offen offset:1024// 000000006C54: E05C1400 80847CCD
	v_mfma_f32_16x16x32_fp8_fp8 v[104:107], a[94:95], v[58:59], v[104:107]// 000000006C5C: D3F30068 0DA2755E
	s_load_dword s61, s[20:21], 0x0                            // 000000006C64: C0020F4A 00000000
	s_addk_i32 s49, 0x100                                      // 000000006C6C: B7310100
	s_cmp_lt_i32 s49, s50                                      // 000000006C70: BF043231
	s_cbranch_scc0 label_20ED                                  // 000000006C74: BF840E0F
	s_waitcnt vmcnt(10)                                        // 000000006C78: BF8C0F7A
	v_mfma_f32_16x16x32_fp8_fp8 v[28:31], a[32:33], v[12:13], 0// 000000006C7C: D3F3001C 0A021920
	s_add_u32 s12, s84, s64                                    // 000000006C84: 800C4054
	s_addc_u32 s13, s85, 0                                     // 000000006C88: 820D8055
	v_mfma_f32_16x16x32_fp8_fp8 v[28:31], a[34:35], v[14:15], v[28:31]// 000000006C8C: D3F3001C 0C721D22
	s_add_u32 s16, s86, s65                                    // 000000006C94: 80104156
	s_addc_u32 s17, s87, 0                                     // 000000006C98: 82118057
	v_mfma_f32_16x16x32_fp8_fp8 v[28:31], a[36:37], v[16:17], v[28:31]// 000000006C9C: D3F3001C 0C722124
	buffer_load_dwordx4 a[0:3], v200, s[12:15], 0 offen        // 000000006CA4: E05C1000 808300C8
	v_mfma_f32_16x16x32_fp8_fp8 v[28:31], a[38:39], v[18:19], v[28:31]// 000000006CAC: D3F3001C 0C722526
	s_add_u32 s28, s88, s66                                    // 000000006CB4: 801C4258
	s_addc_u32 s29, s89, 0                                     // 000000006CB8: 821D8059
	v_mfma_f32_16x16x32_fp8_fp8 v[32:35], a[40:41], v[12:13], 0// 000000006CBC: D3F30020 0A021928
	s_add_u32 s32, s90, s66                                    // 000000006CC4: 8020425A
	s_addc_u32 s33, s91, 0                                     // 000000006CC8: 8221805B
	v_mfma_f32_16x16x32_fp8_fp8 v[32:35], a[42:43], v[14:15], v[32:35]// 000000006CCC: D3F30020 0C821D2A
	s_add_u32 s64, s64, 0x1000                                 // 000000006CD4: 8040FF40 00001000
	s_add_u32 s65, s65, 0x8000                                 // 000000006CDC: 8041FF41 00008000
	v_mfma_f32_16x16x32_fp8_fp8 v[32:35], a[44:45], v[16:17], v[32:35]// 000000006CE4: D3F30020 0C82212C
	buffer_load_dwordx4 a[4:7], v201, s[12:15], 0 offen        // 000000006CEC: E05C1000 808304C9
	v_mfma_f32_16x16x32_fp8_fp8 v[32:35], a[46:47], v[18:19], v[32:35]// 000000006CF4: D3F30020 0C82252E
	s_add_u32 s66, s66, 0x400                                  // 000000006CFC: 8042FF42 00000400
	v_mfma_f32_16x16x32_fp8_fp8 v[36:39], a[48:49], v[12:13], 0// 000000006D04: D3F30024 0A021930
	v_mfma_f32_16x16x32_fp8_fp8 v[36:39], a[50:51], v[14:15], v[36:39]// 000000006D0C: D3F30024 0C921D32
	v_mfma_f32_16x16x32_fp8_fp8 v[36:39], a[52:53], v[16:17], v[36:39]// 000000006D14: D3F30024 0C922134
	buffer_load_dwordx4 a[8:11], v200, s[12:15], 0 offen offset:1024// 000000006D1C: E05C1400 808308C8
	v_mfma_f32_16x16x32_fp8_fp8 v[36:39], a[54:55], v[18:19], v[36:39]// 000000006D24: D3F30024 0C922536
	v_mfma_f32_16x16x32_fp8_fp8 v[40:43], a[56:57], v[12:13], 0// 000000006D2C: D3F30028 0A021938
	v_mfma_f32_16x16x32_fp8_fp8 v[40:43], a[58:59], v[14:15], v[40:43]// 000000006D34: D3F30028 0CA21D3A
	v_mfma_f32_16x16x32_fp8_fp8 v[40:43], a[60:61], v[16:17], v[40:43]// 000000006D3C: D3F30028 0CA2213C
	buffer_load_dwordx4 a[12:15], v201, s[12:15], 0 offen offset:1024// 000000006D44: E05C1400 80830CC9
	v_mfma_f32_16x16x32_fp8_fp8 v[40:43], a[62:63], v[18:19], v[40:43]// 000000006D4C: D3F30028 0CA2253E
	v_mfma_f32_16x16x32_fp8_fp8 v[44:47], a[32:33], v[20:21], 0// 000000006D54: D3F3002C 0A022920
	v_mfma_f32_16x16x32_fp8_fp8 v[44:47], a[34:35], v[22:23], v[44:47]// 000000006D5C: D3F3002C 0CB22D22
	v_mfma_f32_16x16x32_fp8_fp8 v[44:47], a[36:37], v[24:25], v[44:47]// 000000006D64: D3F3002C 0CB23124
	buffer_load_dwordx4 a[16:19], v200, s[12:15], 0 offen offset:2048// 000000006D6C: E05C1800 808310C8
	v_mfma_f32_16x16x32_fp8_fp8 v[44:47], a[38:39], v[26:27], v[44:47]// 000000006D74: D3F3002C 0CB23526
	v_mfma_f32_16x16x32_fp8_fp8 v[48:51], a[40:41], v[20:21], 0// 000000006D7C: D3F30030 0A022928
	v_mfma_f32_16x16x32_fp8_fp8 v[48:51], a[42:43], v[22:23], v[48:51]// 000000006D84: D3F30030 0CC22D2A
	v_mfma_f32_16x16x32_fp8_fp8 v[48:51], a[44:45], v[24:25], v[48:51]// 000000006D8C: D3F30030 0CC2312C
	buffer_load_dwordx4 a[20:23], v201, s[12:15], 0 offen offset:2048// 000000006D94: E05C1800 808314C9
	v_mfma_f32_16x16x32_fp8_fp8 v[48:51], a[46:47], v[26:27], v[48:51]// 000000006D9C: D3F30030 0CC2352E
	v_mfma_f32_16x16x32_fp8_fp8 v[52:55], a[48:49], v[20:21], 0// 000000006DA4: D3F30034 0A022930
	v_mfma_f32_16x16x32_fp8_fp8 v[52:55], a[50:51], v[22:23], v[52:55]// 000000006DAC: D3F30034 0CD22D32
	v_mfma_f32_16x16x32_fp8_fp8 v[52:55], a[52:53], v[24:25], v[52:55]// 000000006DB4: D3F30034 0CD23134
	buffer_load_dwordx4 a[24:27], v200, s[12:15], 0 offen offset:3072// 000000006DBC: E05C1C00 808318C8
	v_mfma_f32_16x16x32_fp8_fp8 v[52:55], a[54:55], v[26:27], v[52:55]// 000000006DC4: D3F30034 0CD23536
	v_mfma_f32_16x16x32_fp8_fp8 v[56:59], a[56:57], v[20:21], 0// 000000006DCC: D3F30038 0A022938
	v_mfma_f32_16x16x32_fp8_fp8 v[56:59], a[58:59], v[22:23], v[56:59]// 000000006DD4: D3F30038 0CE22D3A
	v_mfma_f32_16x16x32_fp8_fp8 v[56:59], a[60:61], v[24:25], v[56:59]// 000000006DDC: D3F30038 0CE2313C
	buffer_load_dwordx4 a[28:31], v201, s[12:15], 0 offen offset:3072// 000000006DE4: E05C1C00 80831CC9
	v_mfma_f32_16x16x32_fp8_fp8 v[56:59], a[62:63], v[26:27], v[56:59]// 000000006DEC: D3F30038 0CE2353E
	s_waitcnt vmcnt(16)                                        // 000000006DF4: BF8C4F70
	v_pk_mul_f32 v[28:29], v[124:125], v[28:29]                // 000000006DF8: D3B1401C 1802397C
	v_pk_mul_f32 v[30:31], v[124:125], v[30:31]                // 000000006E00: D3B1401E 18023D7C
	v_mul_f32_dpp v28, v129, v28 row_newbcast:0 row_mask:0xf bank_mask:0xf// 000000006E08: 0A3838FA FF015081
	v_mul_f32_dpp v29, v129, v29 row_newbcast:1 row_mask:0xf bank_mask:0xf// 000000006E10: 0A3A3AFA FF015181
	v_mul_f32_dpp v30, v129, v30 row_newbcast:2 row_mask:0xf bank_mask:0xf// 000000006E18: 0A3C3CFA FF015281
	v_mul_f32_dpp v31, v129, v31 row_newbcast:3 row_mask:0xf bank_mask:0xf// 000000006E20: 0A3E3EFA FF015381
	v_pk_mul_f32 v[32:33], v[124:125], v[32:33]                // 000000006E28: D3B14020 1802417C
	v_pk_mul_f32 v[34:35], v[124:125], v[34:35]                // 000000006E30: D3B14022 1802457C
	v_mul_f32_dpp v32, v129, v32 row_newbcast:4 row_mask:0xf bank_mask:0xf// 000000006E38: 0A4040FA FF015481
	v_mul_f32_dpp v33, v129, v33 row_newbcast:5 row_mask:0xf bank_mask:0xf// 000000006E40: 0A4242FA FF015581
	v_mul_f32_dpp v34, v129, v34 row_newbcast:6 row_mask:0xf bank_mask:0xf// 000000006E48: 0A4444FA FF015681
	v_mul_f32_dpp v35, v129, v35 row_newbcast:7 row_mask:0xf bank_mask:0xf// 000000006E50: 0A4646FA FF015781
	v_pk_mul_f32 v[36:37], v[124:125], v[36:37]                // 000000006E58: D3B14024 1802497C
	v_pk_mul_f32 v[38:39], v[124:125], v[38:39]                // 000000006E60: D3B14026 18024D7C
	v_mul_f32_dpp v36, v129, v36 row_newbcast:8 row_mask:0xf bank_mask:0xf// 000000006E68: 0A4848FA FF015881
	v_mul_f32_dpp v37, v129, v37 row_newbcast:9 row_mask:0xf bank_mask:0xf// 000000006E70: 0A4A4AFA FF015981
	v_mul_f32_dpp v38, v129, v38 row_newbcast:10 row_mask:0xf bank_mask:0xf// 000000006E78: 0A4C4CFA FF015A81
	v_mul_f32_dpp v39, v129, v39 row_newbcast:11 row_mask:0xf bank_mask:0xf// 000000006E80: 0A4E4EFA FF015B81
	v_pk_mul_f32 v[40:41], v[124:125], v[40:41]                // 000000006E88: D3B14028 1802517C
	v_pk_mul_f32 v[42:43], v[124:125], v[42:43]                // 000000006E90: D3B1402A 1802557C
	v_mul_f32_dpp v40, v129, v40 row_newbcast:12 row_mask:0xf bank_mask:0xf// 000000006E98: 0A5050FA FF015C81
	v_mul_f32_dpp v41, v129, v41 row_newbcast:13 row_mask:0xf bank_mask:0xf// 000000006EA0: 0A5252FA FF015D81
	v_mul_f32_dpp v42, v129, v42 row_newbcast:14 row_mask:0xf bank_mask:0xf// 000000006EA8: 0A5454FA FF015E81
	v_mul_f32_dpp v43, v129, v43 row_newbcast:15 row_mask:0xf bank_mask:0xf// 000000006EB0: 0A5656FA FF015F81
	v_pk_mul_f32 v[44:45], v[126:127], v[44:45]                // 000000006EB8: D3B1402C 1802597E
	v_pk_mul_f32 v[46:47], v[126:127], v[46:47]                // 000000006EC0: D3B1402E 18025D7E
	v_mul_f32_dpp v44, v129, v44 row_newbcast:0 row_mask:0xf bank_mask:0xf// 000000006EC8: 0A5858FA FF015081
	v_mul_f32_dpp v45, v129, v45 row_newbcast:1 row_mask:0xf bank_mask:0xf// 000000006ED0: 0A5A5AFA FF015181
	v_mul_f32_dpp v46, v129, v46 row_newbcast:2 row_mask:0xf bank_mask:0xf// 000000006ED8: 0A5C5CFA FF015281
	v_mul_f32_dpp v47, v129, v47 row_newbcast:3 row_mask:0xf bank_mask:0xf// 000000006EE0: 0A5E5EFA FF015381
	v_pk_mul_f32 v[48:49], v[126:127], v[48:49]                // 000000006EE8: D3B14030 1802617E
	v_pk_mul_f32 v[50:51], v[126:127], v[50:51]                // 000000006EF0: D3B14032 1802657E
	v_mul_f32_dpp v48, v129, v48 row_newbcast:4 row_mask:0xf bank_mask:0xf// 000000006EF8: 0A6060FA FF015481
	v_mul_f32_dpp v49, v129, v49 row_newbcast:5 row_mask:0xf bank_mask:0xf// 000000006F00: 0A6262FA FF015581
	v_mul_f32_dpp v50, v129, v50 row_newbcast:6 row_mask:0xf bank_mask:0xf// 000000006F08: 0A6464FA FF015681
	v_mul_f32_dpp v51, v129, v51 row_newbcast:7 row_mask:0xf bank_mask:0xf// 000000006F10: 0A6666FA FF015781
	v_pk_mul_f32 v[52:53], v[126:127], v[52:53]                // 000000006F18: D3B14034 1802697E
	v_pk_mul_f32 v[54:55], v[126:127], v[54:55]                // 000000006F20: D3B14036 18026D7E
	v_mul_f32_dpp v52, v129, v52 row_newbcast:8 row_mask:0xf bank_mask:0xf// 000000006F28: 0A6868FA FF015881
	v_mul_f32_dpp v53, v129, v53 row_newbcast:9 row_mask:0xf bank_mask:0xf// 000000006F30: 0A6A6AFA FF015981
	v_mul_f32_dpp v54, v129, v54 row_newbcast:10 row_mask:0xf bank_mask:0xf// 000000006F38: 0A6C6CFA FF015A81
	v_mul_f32_dpp v55, v129, v55 row_newbcast:11 row_mask:0xf bank_mask:0xf// 000000006F40: 0A6E6EFA FF015B81
	v_pk_mul_f32 v[56:57], v[126:127], v[56:57]                // 000000006F48: D3B14038 1802717E
	v_pk_mul_f32 v[58:59], v[126:127], v[58:59]                // 000000006F50: D3B1403A 1802757E
	v_mul_f32_dpp v56, v129, v56 row_newbcast:12 row_mask:0xf bank_mask:0xf// 000000006F58: 0A7070FA FF015C81
	v_mul_f32_dpp v57, v129, v57 row_newbcast:13 row_mask:0xf bank_mask:0xf// 000000006F60: 0A7272FA FF015D81
	v_mul_f32_dpp v58, v129, v58 row_newbcast:14 row_mask:0xf bank_mask:0xf// 000000006F68: 0A7474FA FF015E81
	v_mul_f32_dpp v59, v129, v59 row_newbcast:15 row_mask:0xf bank_mask:0xf// 000000006F70: 0A7676FA FF015F81
	v_mov_b32_e32 v148, v28                                    // 000000006F78: 7F28031C
	v_max3_f32 v148, v28, v29, v148                            // 000000006F7C: D1D30094 06523B1C
	v_max3_f32 v148, v30, v31, v148                            // 000000006F84: D1D30094 06523F1E
	v_max3_f32 v148, v32, v33, v148                            // 000000006F8C: D1D30094 06524320
	v_max3_f32 v148, v34, v35, v148                            // 000000006F94: D1D30094 06524722
	v_max3_f32 v148, v36, v37, v148                            // 000000006F9C: D1D30094 06524B24
	v_max3_f32 v148, v38, v39, v148                            // 000000006FA4: D1D30094 06524F26
	v_max3_f32 v148, v40, v41, v148                            // 000000006FAC: D1D30094 06525328
	v_max3_f32 v148, v42, v43, v148                            // 000000006FB4: D1D30094 0652572A
	v_mov_b32_e32 v149, v44                                    // 000000006FBC: 7F2A032C
	v_max3_f32 v149, v44, v45, v149                            // 000000006FC0: D1D30095 06565B2C
	v_max3_f32 v149, v46, v47, v149                            // 000000006FC8: D1D30095 06565F2E
	v_max3_f32 v149, v48, v49, v149                            // 000000006FD0: D1D30095 06566330
	v_max3_f32 v149, v50, v51, v149                            // 000000006FD8: D1D30095 06566732
	v_max3_f32 v149, v52, v53, v149                            // 000000006FE0: D1D30095 06566B34
	v_max3_f32 v149, v54, v55, v149                            // 000000006FE8: D1D30095 06566F36
	v_max3_f32 v149, v56, v57, v149                            // 000000006FF0: D1D30095 06567338
	v_max3_f32 v149, v58, v59, v149                            // 000000006FF8: D1D30095 0656773A
	ds_write_b64 v214, v[148:149]                              // 000000007000: D89A0000 000094D6
	v_pk_mul_f32 v[108:109], v[140:141], v[108:109]            // 000000007008: D3B1406C 1802D98C
	v_pk_mul_f32 v[110:111], v[140:141], v[110:111]            // 000000007010: D3B1406E 1802DD8C
	v_pk_mul_f32 v[112:113], v[140:141], v[112:113]            // 000000007018: D3B14070 1802E18C
	v_pk_mul_f32 v[114:115], v[140:141], v[114:115]            // 000000007020: D3B14072 1802E58C
	v_pk_mul_f32 v[116:117], v[142:143], v[116:117]            // 000000007028: D3B14074 1802E98E
	v_pk_mul_f32 v[118:119], v[142:143], v[118:119]            // 000000007030: D3B14076 1802ED8E
	v_pk_mul_f32 v[120:121], v[142:143], v[120:121]            // 000000007038: D3B14078 1802F18E
	v_pk_mul_f32 v[122:123], v[142:143], v[122:123]            // 000000007040: D3B1407A 1802F58E
	s_waitcnt lgkmcnt(0)                                       // 000000007048: BF8CC07F
	s_barrier                                                  // 00000000704C: BF8A0000
	v_pk_mul_f32 v[92:93], v[132:133], v[92:93]                // 000000007050: D3B1405C 1802B984
	v_pk_mul_f32 v[94:95], v[132:133], v[94:95]                // 000000007058: D3B1405E 1802BD84
	v_pk_mul_f32 v[96:97], v[132:133], v[96:97]                // 000000007060: D3B14060 1802C184
	v_pk_mul_f32 v[98:99], v[132:133], v[98:99]                // 000000007068: D3B14062 1802C584
	v_pk_mul_f32 v[100:101], v[134:135], v[100:101]            // 000000007070: D3B14064 1802C986
	v_pk_mul_f32 v[102:103], v[134:135], v[102:103]            // 000000007078: D3B14066 1802CD86
	v_pk_mul_f32 v[104:105], v[134:135], v[104:105]            // 000000007080: D3B14068 1802D186
	v_pk_mul_f32 v[106:107], v[134:135], v[106:107]            // 000000007088: D3B1406A 1802D586
	ds_read_b64 v[152:153], v215                               // 000000007090: D8EC0000 980000D7
	ds_read_b64 v[154:155], v215 offset:128                    // 000000007098: D8EC0080 9A0000D7
	ds_read_b64 v[156:157], v215 offset:256                    // 0000000070A0: D8EC0100 9C0000D7
	ds_read_b64 v[158:159], v215 offset:384                    // 0000000070A8: D8EC0180 9E0000D7
	ds_read_b64 v[160:161], v215 offset:512                    // 0000000070B0: D8EC0200 A00000D7
	ds_read_b64 v[162:163], v215 offset:640                    // 0000000070B8: D8EC0280 A20000D7
	ds_read_b64 v[164:165], v215 offset:768                    // 0000000070C0: D8EC0300 A40000D7
	ds_read_b64 v[166:167], v215 offset:896                    // 0000000070C8: D8EC0380 A60000D7
	ds_read_b64 v[168:169], v215 offset:1024                   // 0000000070D0: D8EC0400 A80000D7
	ds_read_b64 v[170:171], v215 offset:1152                   // 0000000070D8: D8EC0480 AA0000D7
	ds_read_b64 v[172:173], v215 offset:1280                   // 0000000070E0: D8EC0500 AC0000D7
	ds_read_b64 v[174:175], v215 offset:1408                   // 0000000070E8: D8EC0580 AE0000D7
	ds_read_b64 v[176:177], v215 offset:1536                   // 0000000070F0: D8EC0600 B00000D7
	ds_read_b64 v[178:179], v215 offset:1664                   // 0000000070F8: D8EC0680 B20000D7
	ds_read_b64 v[180:181], v215 offset:1792                   // 000000007100: D8EC0700 B40000D7
	ds_read_b64 v[182:183], v215 offset:1920                   // 000000007108: D8EC0780 B60000D7
	s_waitcnt lgkmcnt(0)                                       // 000000007110: BF8CC07F
	v_max3_f32 v148, v152, v154, v148                          // 000000007114: D1D30094 06533598
	v_max3_f32 v149, v153, v155, v149                          // 00000000711C: D1D30095 06573799
	v_max3_f32 v148, v156, v158, v148                          // 000000007124: D1D30094 06533D9C
	v_max3_f32 v149, v157, v159, v149                          // 00000000712C: D1D30095 06573F9D
	v_max3_f32 v148, v160, v162, v148                          // 000000007134: D1D30094 065345A0
	v_max3_f32 v149, v161, v163, v149                          // 00000000713C: D1D30095 065747A1
	v_max3_f32 v148, v164, v166, v148                          // 000000007144: D1D30094 06534DA4
	v_max3_f32 v149, v165, v167, v149                          // 00000000714C: D1D30095 06574FA5
	v_max3_f32 v148, v168, v170, v148                          // 000000007154: D1D30094 065355A8
	v_max3_f32 v149, v169, v171, v149                          // 00000000715C: D1D30095 065757A9
	v_max3_f32 v148, v172, v174, v148                          // 000000007164: D1D30094 06535DAC
	v_max3_f32 v149, v173, v175, v149                          // 00000000716C: D1D30095 06575FAD
	v_max3_f32 v148, v176, v178, v148                          // 000000007174: D1D30094 065365B0
	v_max3_f32 v149, v177, v179, v149                          // 00000000717C: D1D30095 065767B1
	v_max3_f32 v148, v180, v182, v148                          // 000000007184: D1D30094 06536DB4
	v_max3_f32 v149, v181, v183, v149                          // 00000000718C: D1D30095 06576FB5
	v_max_f32_e32 v138, v148, v136                             // 000000007194: 17151194
	v_mul_f32_e64 v184, -s51, v138                             // 000000007198: D10500B8 20031433
	v_mov_b32_e32 v185, v184                                   // 0000000071A0: 7F7203B8
	v_pk_fma_f32 v[28:29], v[28:29], s[68:69], v[184:185]      // 0000000071A4: D3B0401C 1EE0891C
	v_pk_fma_f32 v[30:31], v[30:31], s[68:69], v[184:185]      // 0000000071AC: D3B0401E 1EE0891E
	v_exp_f32_e32 v28, v28                                     // 0000000071B4: 7E38411C
	v_exp_f32_e32 v29, v29                                     // 0000000071B8: 7E3A411D
	v_exp_f32_e32 v30, v30                                     // 0000000071BC: 7E3C411E
	v_exp_f32_e32 v31, v31                                     // 0000000071C0: 7E3E411F
	v_pk_fma_f32 v[32:33], v[32:33], s[68:69], v[184:185]      // 0000000071C4: D3B04020 1EE08920
	v_pk_fma_f32 v[34:35], v[34:35], s[68:69], v[184:185]      // 0000000071CC: D3B04022 1EE08922
	v_exp_f32_e32 v32, v32                                     // 0000000071D4: 7E404120
	v_exp_f32_e32 v33, v33                                     // 0000000071D8: 7E424121
	v_exp_f32_e32 v34, v34                                     // 0000000071DC: 7E444122
	v_exp_f32_e32 v35, v35                                     // 0000000071E0: 7E464123
	v_pk_fma_f32 v[36:37], v[36:37], s[68:69], v[184:185]      // 0000000071E4: D3B04024 1EE08924
	v_pk_fma_f32 v[38:39], v[38:39], s[68:69], v[184:185]      // 0000000071EC: D3B04026 1EE08926
	v_exp_f32_e32 v36, v36                                     // 0000000071F4: 7E484124
	v_exp_f32_e32 v37, v37                                     // 0000000071F8: 7E4A4125
	v_exp_f32_e32 v38, v38                                     // 0000000071FC: 7E4C4126
	v_exp_f32_e32 v39, v39                                     // 000000007200: 7E4E4127
	v_pk_fma_f32 v[40:41], v[40:41], s[68:69], v[184:185]      // 000000007204: D3B04028 1EE08928
	v_pk_fma_f32 v[42:43], v[42:43], s[68:69], v[184:185]      // 00000000720C: D3B0402A 1EE0892A
	v_exp_f32_e32 v40, v40                                     // 000000007214: 7E504128
	v_exp_f32_e32 v41, v41                                     // 000000007218: 7E524129
	v_exp_f32_e32 v42, v42                                     // 00000000721C: 7E54412A
	v_exp_f32_e32 v43, v43                                     // 000000007220: 7E56412B
	v_max_f32_e32 v139, v149, v137                             // 000000007224: 17171395
	v_mul_f32_e64 v184, -s51, v139                             // 000000007228: D10500B8 20031633
	v_mov_b32_e32 v185, v184                                   // 000000007230: 7F7203B8
	v_pk_fma_f32 v[44:45], v[44:45], s[68:69], v[184:185]      // 000000007234: D3B0402C 1EE0892C
	v_pk_fma_f32 v[46:47], v[46:47], s[68:69], v[184:185]      // 00000000723C: D3B0402E 1EE0892E
	v_exp_f32_e32 v44, v44                                     // 000000007244: 7E58412C
	v_exp_f32_e32 v45, v45                                     // 000000007248: 7E5A412D
	v_exp_f32_e32 v46, v46                                     // 00000000724C: 7E5C412E
	v_exp_f32_e32 v47, v47                                     // 000000007250: 7E5E412F
	v_pk_fma_f32 v[48:49], v[48:49], s[68:69], v[184:185]      // 000000007254: D3B04030 1EE08930
	v_pk_fma_f32 v[50:51], v[50:51], s[68:69], v[184:185]      // 00000000725C: D3B04032 1EE08932
	v_exp_f32_e32 v48, v48                                     // 000000007264: 7E604130
	v_exp_f32_e32 v49, v49                                     // 000000007268: 7E624131
	v_exp_f32_e32 v50, v50                                     // 00000000726C: 7E644132
	v_exp_f32_e32 v51, v51                                     // 000000007270: 7E664133
	v_pk_fma_f32 v[52:53], v[52:53], s[68:69], v[184:185]      // 000000007274: D3B04034 1EE08934
	v_pk_fma_f32 v[54:55], v[54:55], s[68:69], v[184:185]      // 00000000727C: D3B04036 1EE08936
	v_exp_f32_e32 v52, v52                                     // 000000007284: 7E684134
	v_exp_f32_e32 v53, v53                                     // 000000007288: 7E6A4135
	v_exp_f32_e32 v54, v54                                     // 00000000728C: 7E6C4136
	v_exp_f32_e32 v55, v55                                     // 000000007290: 7E6E4137
	v_pk_fma_f32 v[56:57], v[56:57], s[68:69], v[184:185]      // 000000007294: D3B04038 1EE08938
	v_pk_fma_f32 v[58:59], v[58:59], s[68:69], v[184:185]      // 00000000729C: D3B0403A 1EE0893A
	v_exp_f32_e32 v56, v56                                     // 0000000072A4: 7E704138
	v_exp_f32_e32 v57, v57                                     // 0000000072A8: 7E724139
	v_exp_f32_e32 v58, v58                                     // 0000000072AC: 7E74413A
	v_exp_f32_e32 v59, v59                                     // 0000000072B0: 7E76413B
	v_mul_f32_dpp v60, v131, v28 row_newbcast:0 row_mask:0xf bank_mask:0xf// 0000000072B4: 0A7838FA FF015083
	v_mul_f32_dpp v61, v131, v29 row_newbcast:1 row_mask:0xf bank_mask:0xf// 0000000072BC: 0A7A3AFA FF015183
	v_mul_f32_dpp v62, v131, v30 row_newbcast:2 row_mask:0xf bank_mask:0xf// 0000000072C4: 0A7C3CFA FF015283
	v_mul_f32_dpp v63, v131, v31 row_newbcast:3 row_mask:0xf bank_mask:0xf// 0000000072CC: 0A7E3EFA FF015383
	v_mul_f32_dpp v64, v131, v32 row_newbcast:4 row_mask:0xf bank_mask:0xf// 0000000072D4: 0A8040FA FF015483
	v_mul_f32_dpp v65, v131, v33 row_newbcast:5 row_mask:0xf bank_mask:0xf// 0000000072DC: 0A8242FA FF015583
	v_mul_f32_dpp v66, v131, v34 row_newbcast:6 row_mask:0xf bank_mask:0xf// 0000000072E4: 0A8444FA FF015683
	v_mul_f32_dpp v67, v131, v35 row_newbcast:7 row_mask:0xf bank_mask:0xf// 0000000072EC: 0A8646FA FF015783
	v_mul_f32_dpp v68, v131, v36 row_newbcast:8 row_mask:0xf bank_mask:0xf// 0000000072F4: 0A8848FA FF015883
	v_mul_f32_dpp v69, v131, v37 row_newbcast:9 row_mask:0xf bank_mask:0xf// 0000000072FC: 0A8A4AFA FF015983
	v_mul_f32_dpp v70, v131, v38 row_newbcast:10 row_mask:0xf bank_mask:0xf// 000000007304: 0A8C4CFA FF015A83
	v_mul_f32_dpp v71, v131, v39 row_newbcast:11 row_mask:0xf bank_mask:0xf// 00000000730C: 0A8E4EFA FF015B83
	v_mul_f32_dpp v72, v131, v40 row_newbcast:12 row_mask:0xf bank_mask:0xf// 000000007314: 0A9050FA FF015C83
	v_mul_f32_dpp v73, v131, v41 row_newbcast:13 row_mask:0xf bank_mask:0xf// 00000000731C: 0A9252FA FF015D83
	v_mul_f32_dpp v74, v131, v42 row_newbcast:14 row_mask:0xf bank_mask:0xf// 000000007324: 0A9454FA FF015E83
	v_mul_f32_dpp v75, v131, v43 row_newbcast:15 row_mask:0xf bank_mask:0xf// 00000000732C: 0A9656FA FF015F83
	v_mul_f32_dpp v76, v131, v44 row_newbcast:0 row_mask:0xf bank_mask:0xf// 000000007334: 0A9858FA FF015083
	v_mul_f32_dpp v77, v131, v45 row_newbcast:1 row_mask:0xf bank_mask:0xf// 00000000733C: 0A9A5AFA FF015183
	v_mul_f32_dpp v78, v131, v46 row_newbcast:2 row_mask:0xf bank_mask:0xf// 000000007344: 0A9C5CFA FF015283
	v_mul_f32_dpp v79, v131, v47 row_newbcast:3 row_mask:0xf bank_mask:0xf// 00000000734C: 0A9E5EFA FF015383
	v_mul_f32_dpp v80, v131, v48 row_newbcast:4 row_mask:0xf bank_mask:0xf// 000000007354: 0AA060FA FF015483
	v_mul_f32_dpp v81, v131, v49 row_newbcast:5 row_mask:0xf bank_mask:0xf// 00000000735C: 0AA262FA FF015583
	v_mul_f32_dpp v82, v131, v50 row_newbcast:6 row_mask:0xf bank_mask:0xf// 000000007364: 0AA464FA FF015683
	v_mul_f32_dpp v83, v131, v51 row_newbcast:7 row_mask:0xf bank_mask:0xf// 00000000736C: 0AA666FA FF015783
	v_mul_f32_dpp v84, v131, v52 row_newbcast:8 row_mask:0xf bank_mask:0xf// 000000007374: 0AA868FA FF015883
	v_mul_f32_dpp v85, v131, v53 row_newbcast:9 row_mask:0xf bank_mask:0xf// 00000000737C: 0AAA6AFA FF015983
	v_mul_f32_dpp v86, v131, v54 row_newbcast:10 row_mask:0xf bank_mask:0xf// 000000007384: 0AAC6CFA FF015A83
	v_mul_f32_dpp v87, v131, v55 row_newbcast:11 row_mask:0xf bank_mask:0xf// 00000000738C: 0AAE6EFA FF015B83
	v_mul_f32_dpp v88, v131, v56 row_newbcast:12 row_mask:0xf bank_mask:0xf// 000000007394: 0AB070FA FF015C83
	v_mul_f32_dpp v89, v131, v57 row_newbcast:13 row_mask:0xf bank_mask:0xf// 00000000739C: 0AB272FA FF015D83
	v_mul_f32_dpp v90, v131, v58 row_newbcast:14 row_mask:0xf bank_mask:0xf// 0000000073A4: 0AB474FA FF015E83
	v_mul_f32_dpp v91, v131, v59 row_newbcast:15 row_mask:0xf bank_mask:0xf// 0000000073AC: 0AB676FA FF015F83
	v_mov_b32_e32 v148, 0x358637bd                             // 0000000073B4: 7F2802FF 358637BD
	v_max3_f32 v148, |v60|, |v61|, v148                        // 0000000073BC: D1D30394 06527B3C
	v_max3_f32 v148, |v62|, |v63|, v148                        // 0000000073C4: D1D30394 06527F3E
	v_max3_f32 v148, |v64|, |v65|, v148                        // 0000000073CC: D1D30394 06528340
	v_max3_f32 v148, |v66|, |v67|, v148                        // 0000000073D4: D1D30394 06528742
	v_max3_f32 v148, |v68|, |v69|, v148                        // 0000000073DC: D1D30394 06528B44
	v_max3_f32 v148, |v70|, |v71|, v148                        // 0000000073E4: D1D30394 06528F46
	v_max3_f32 v148, |v72|, |v73|, v148                        // 0000000073EC: D1D30394 06529348
	v_max3_f32 v148, |v74|, |v75|, v148                        // 0000000073F4: D1D30394 0652974A
	v_mov_b32_e32 v149, 0x358637bd                             // 0000000073FC: 7F2A02FF 358637BD
	v_max3_f32 v149, |v76|, |v77|, v149                        // 000000007404: D1D30395 06569B4C
	v_max3_f32 v149, |v78|, |v79|, v149                        // 00000000740C: D1D30395 06569F4E
	v_max3_f32 v149, |v80|, |v81|, v149                        // 000000007414: D1D30395 0656A350
	v_max3_f32 v149, |v82|, |v83|, v149                        // 00000000741C: D1D30395 0656A752
	v_max3_f32 v149, |v84|, |v85|, v149                        // 000000007424: D1D30395 0656AB54
	v_max3_f32 v149, |v86|, |v87|, v149                        // 00000000742C: D1D30395 0656AF56
	v_max3_f32 v149, |v88|, |v89|, v149                        // 000000007434: D1D30395 0656B358
	v_max3_f32 v149, |v90|, |v91|, v149                        // 00000000743C: D1D30395 0656B75A
	ds_write_b64 v214, v[148:149] offset:2304                  // 000000007444: D89A0900 000094D6
	buffer_load_dword v128, v206, s[28:31], 0 offen            // 00000000744C: E0501000 800780CE
	v_sub_f32_e32 v140, v136, v138                             // 000000007454: 05191588
	v_cmp_eq_u32_e64 s[92:93], v195, v136                      // 000000007458: D0CA005C 000311C3
	s_nop 0                                                    // 000000007460: BF800000
	v_cndmask_b32_e64 v140, v140, 0, s[92:93]                  // 000000007464: D100008C 0171018C
	v_mov_b32_e32 v136, v138                                   // 00000000746C: 7F10038A
	v_mul_f32_e32 v140, s51, v140                              // 000000007470: 0B191833
	v_exp_f32_e32 v140, v140                                   // 000000007474: 7F18418C
	v_sub_f32_e32 v142, v137, v139                             // 000000007478: 051D1789
	v_cmp_eq_u32_e64 s[92:93], v195, v137                      // 00000000747C: D0CA005C 000313C3
	s_nop 0                                                    // 000000007484: BF800000
	v_cndmask_b32_e64 v142, v142, 0, s[92:93]                  // 000000007488: D100008E 0171018E
	v_mov_b32_e32 v137, v139                                   // 000000007490: 7F12038B
	v_mul_f32_e32 v142, s51, v142                              // 000000007494: 0B1D1C33
	v_exp_f32_e32 v142, v142                                   // 000000007498: 7F1C418E
	v_mov_b32_e32 v141, v140                                   // 00000000749C: 7F1A038C
	v_mov_b32_e32 v143, v142                                   // 0000000074A0: 7F1E038E
	buffer_load_dword v130, v207, s[32:35], 0 offen            // 0000000074A4: E0501000 800882CF
	s_waitcnt lgkmcnt(0)                                       // 0000000074AC: BF8CC07F
	s_barrier                                                  // 0000000074B0: BF8A0000
	v_mul_f32_e32 v144, v140, v144                             // 0000000074B4: 0B21218C
	v_add_f32_e32 v144, v28, v144                              // 0000000074B8: 0321211C
	v_add_f32_e32 v144, v29, v144                              // 0000000074BC: 0321211D
	v_add_f32_e32 v144, v30, v144                              // 0000000074C0: 0321211E
	v_add_f32_e32 v144, v31, v144                              // 0000000074C4: 0321211F
	v_add_f32_e32 v144, v32, v144                              // 0000000074C8: 03212120
	v_add_f32_e32 v144, v33, v144                              // 0000000074CC: 03212121
	v_add_f32_e32 v144, v34, v144                              // 0000000074D0: 03212122
	v_add_f32_e32 v144, v35, v144                              // 0000000074D4: 03212123
	v_add_f32_e32 v144, v36, v144                              // 0000000074D8: 03212124
	v_add_f32_e32 v144, v37, v144                              // 0000000074DC: 03212125
	v_add_f32_e32 v144, v38, v144                              // 0000000074E0: 03212126
	v_add_f32_e32 v144, v39, v144                              // 0000000074E4: 03212127
	v_add_f32_e32 v144, v40, v144                              // 0000000074E8: 03212128
	v_add_f32_e32 v144, v41, v144                              // 0000000074EC: 03212129
	v_add_f32_e32 v144, v42, v144                              // 0000000074F0: 0321212A
	v_add_f32_e32 v144, v43, v144                              // 0000000074F4: 0321212B
	v_mul_f32_e32 v145, v142, v145                             // 0000000074F8: 0B23238E
	v_add_f32_e32 v145, v44, v145                              // 0000000074FC: 0323232C
	v_add_f32_e32 v145, v45, v145                              // 000000007500: 0323232D
	v_add_f32_e32 v145, v46, v145                              // 000000007504: 0323232E
	v_add_f32_e32 v145, v47, v145                              // 000000007508: 0323232F
	v_add_f32_e32 v145, v48, v145                              // 00000000750C: 03232330
	v_add_f32_e32 v145, v49, v145                              // 000000007510: 03232331
	v_add_f32_e32 v145, v50, v145                              // 000000007514: 03232332
	;; [unrolled: 1-line block ×3, first 2 shown]
	v_add_f32_e32 v145, v52, v145                              // 00000000751C: 03232334
	v_add_f32_e32 v145, v53, v145                              // 000000007520: 03232335
	v_add_f32_e32 v145, v54, v145                              // 000000007524: 03232336
	;; [unrolled: 1-line block ×3, first 2 shown]
	v_add_f32_e32 v145, v56, v145                              // 00000000752C: 03232338
	v_add_f32_e32 v145, v57, v145                              // 000000007530: 03232339
	v_add_f32_e32 v145, v58, v145                              // 000000007534: 0323233A
	v_add_f32_e32 v145, v59, v145                              // 000000007538: 0323233B
	ds_read_b64 v[152:153], v215 offset:2304                   // 00000000753C: D8EC0900 980000D7
	ds_read_b64 v[154:155], v215 offset:2432                   // 000000007544: D8EC0980 9A0000D7
	ds_read_b64 v[156:157], v215 offset:2560                   // 00000000754C: D8EC0A00 9C0000D7
	ds_read_b64 v[158:159], v215 offset:2688                   // 000000007554: D8EC0A80 9E0000D7
	ds_read_b64 v[160:161], v215 offset:2816                   // 00000000755C: D8EC0B00 A00000D7
	ds_read_b64 v[162:163], v215 offset:2944                   // 000000007564: D8EC0B80 A20000D7
	ds_read_b64 v[164:165], v215 offset:3072                   // 00000000756C: D8EC0C00 A40000D7
	ds_read_b64 v[166:167], v215 offset:3200                   // 000000007574: D8EC0C80 A60000D7
	ds_read_b64 v[168:169], v215 offset:3328                   // 00000000757C: D8EC0D00 A80000D7
	ds_read_b64 v[170:171], v215 offset:3456                   // 000000007584: D8EC0D80 AA0000D7
	ds_read_b64 v[172:173], v215 offset:3584                   // 00000000758C: D8EC0E00 AC0000D7
	ds_read_b64 v[174:175], v215 offset:3712                   // 000000007594: D8EC0E80 AE0000D7
	ds_read_b64 v[176:177], v215 offset:3840                   // 00000000759C: D8EC0F00 B00000D7
	ds_read_b64 v[178:179], v215 offset:3968                   // 0000000075A4: D8EC0F80 B20000D7
	ds_read_b64 v[180:181], v215 offset:4096                   // 0000000075AC: D8EC1000 B40000D7
	ds_read_b64 v[182:183], v215 offset:4224                   // 0000000075B4: D8EC1080 B60000D7
	s_waitcnt lgkmcnt(0)                                       // 0000000075BC: BF8CC07F
	v_max3_f32 v148, v152, v154, v148                          // 0000000075C0: D1D30094 06533598
	v_max3_f32 v149, v153, v155, v149                          // 0000000075C8: D1D30095 06573799
	v_max3_f32 v148, v156, v158, v148                          // 0000000075D0: D1D30094 06533D9C
	v_max3_f32 v149, v157, v159, v149                          // 0000000075D8: D1D30095 06573F9D
	v_max3_f32 v148, v160, v162, v148                          // 0000000075E0: D1D30094 065345A0
	v_max3_f32 v149, v161, v163, v149                          // 0000000075E8: D1D30095 065747A1
	v_max3_f32 v148, v164, v166, v148                          // 0000000075F0: D1D30094 06534DA4
	v_max3_f32 v149, v165, v167, v149                          // 0000000075F8: D1D30095 06574FA5
	v_max3_f32 v148, v168, v170, v148                          // 000000007600: D1D30094 065355A8
	v_max3_f32 v149, v169, v171, v149                          // 000000007608: D1D30095 065757A9
	v_max3_f32 v148, v172, v174, v148                          // 000000007610: D1D30094 06535DAC
	v_max3_f32 v149, v173, v175, v149                          // 000000007618: D1D30095 06575FAD
	v_max3_f32 v148, v176, v178, v148                          // 000000007620: D1D30094 065365B0
	v_max3_f32 v149, v177, v179, v149                          // 000000007628: D1D30095 065767B1
	v_max3_f32 v148, v180, v182, v148                          // 000000007630: D1D30094 06536DB4
	v_max3_f32 v149, v181, v183, v149                          // 000000007638: D1D30095 06576FB5
	v_rcp_f32_e32 v148, v148                                   // 000000007640: 7F284594
	v_rcp_f32_e32 v149, v149                                   // 000000007644: 7F2A4595
	v_mul_f32_e32 v148, 0x43700000, v148                       // 000000007648: 0B2928FF 43700000
	v_mul_f32_e32 v149, 0x43700000, v149                       // 000000007650: 0B2B2AFF 43700000
	v_mov_b32_e32 v150, v149                                   // 000000007658: 7F2C0395
	v_mov_b32_e32 v151, v149                                   // 00000000765C: 7F2E0395
	v_mov_b32_e32 v149, v148                                   // 000000007660: 7F2A0394
	v_pk_mul_f32 v[28:29], v[148:149], v[60:61]                // 000000007664: D3B1401C 18027994
	v_pk_mul_f32 v[30:31], v[148:149], v[62:63]                // 00000000766C: D3B1401E 18027D94
	v_pk_mul_f32 v[32:33], v[148:149], v[64:65]                // 000000007674: D3B14020 18028194
	v_pk_mul_f32 v[34:35], v[148:149], v[66:67]                // 00000000767C: D3B14022 18028594
	v_pk_mul_f32 v[36:37], v[148:149], v[68:69]                // 000000007684: D3B14024 18028994
	v_pk_mul_f32 v[38:39], v[148:149], v[70:71]                // 00000000768C: D3B14026 18028D94
	v_pk_mul_f32 v[40:41], v[148:149], v[72:73]                // 000000007694: D3B14028 18029194
	v_pk_mul_f32 v[42:43], v[148:149], v[74:75]                // 00000000769C: D3B1402A 18029594
	v_pk_mul_f32 v[44:45], v[150:151], v[76:77]                // 0000000076A4: D3B1402C 18029996
	v_pk_mul_f32 v[46:47], v[150:151], v[78:79]                // 0000000076AC: D3B1402E 18029D96
	v_pk_mul_f32 v[48:49], v[150:151], v[80:81]                // 0000000076B4: D3B14030 1802A196
	v_pk_mul_f32 v[50:51], v[150:151], v[82:83]                // 0000000076BC: D3B14032 1802A596
	v_pk_mul_f32 v[52:53], v[150:151], v[84:85]                // 0000000076C4: D3B14034 1802A996
	v_pk_mul_f32 v[54:55], v[150:151], v[86:87]                // 0000000076CC: D3B14036 1802AD96
	v_pk_mul_f32 v[56:57], v[150:151], v[88:89]                // 0000000076D4: D3B14038 1802B196
	v_pk_mul_f32 v[58:59], v[150:151], v[90:91]                // 0000000076DC: D3B1403A 1802B596
	v_cvt_pk_fp8_f32 v28, v28, v29                             // 0000000076E4: D2A2001C 00023B1C
	v_cvt_pk_fp8_f32 v28, v30, v31 op_sel:[0,0,1]              // 0000000076EC: D2A2401C 00023F1E
	v_cvt_pk_fp8_f32 v29, v32, v33                             // 0000000076F4: D2A2001D 00024320
	v_cvt_pk_fp8_f32 v29, v34, v35 op_sel:[0,0,1]              // 0000000076FC: D2A2401D 00024722
	v_cvt_pk_fp8_f32 v30, v36, v37                             // 000000007704: D2A2001E 00024B24
	v_cvt_pk_fp8_f32 v30, v38, v39 op_sel:[0,0,1]              // 00000000770C: D2A2401E 00024F26
	v_cvt_pk_fp8_f32 v31, v40, v41                             // 000000007714: D2A2001F 00025328
	v_cvt_pk_fp8_f32 v31, v42, v43 op_sel:[0,0,1]              // 00000000771C: D2A2401F 0002572A
	v_cvt_pk_fp8_f32 v32, v44, v45                             // 000000007724: D2A20020 00025B2C
	v_cvt_pk_fp8_f32 v32, v46, v47 op_sel:[0,0,1]              // 00000000772C: D2A24020 00025F2E
	v_cvt_pk_fp8_f32 v33, v48, v49                             // 000000007734: D2A20021 00026330
	v_cvt_pk_fp8_f32 v33, v50, v51 op_sel:[0,0,1]              // 00000000773C: D2A24021 00026732
	v_cvt_pk_fp8_f32 v34, v52, v53                             // 000000007744: D2A20022 00026B34
	v_cvt_pk_fp8_f32 v34, v54, v55 op_sel:[0,0,1]              // 00000000774C: D2A24022 00026F36
	v_cvt_pk_fp8_f32 v35, v56, v57                             // 000000007754: D2A20023 00027338
	v_cvt_pk_fp8_f32 v35, v58, v59 op_sel:[0,0,1]              // 00000000775C: D2A24023 0002773A
	ds_write_b32 v216, v28 offset:4608                         // 000000007764: D81A1200 00001CD8
	ds_write_b32 v216, v29 offset:5632                         // 00000000776C: D81A1600 00001DD8
	ds_write_b32 v216, v30 offset:6656                         // 000000007774: D81A1A00 00001ED8
	ds_write_b32 v216, v31 offset:7680                         // 00000000777C: D81A1E00 00001FD8
	ds_write_b32 v216, v32 offset:8704                         // 000000007784: D81A2200 000020D8
	ds_write_b32 v216, v33 offset:9728                         // 00000000778C: D81A2600 000021D8
	ds_write_b32 v216, v34 offset:10752                        // 000000007794: D81A2A00 000022D8
	ds_write_b32 v216, v35 offset:11776                        // 00000000779C: D81A2E00 000023D8
	v_rcp_f32_e32 v132, v148                                   // 0000000077A4: 7F084594
	v_rcp_f32_e32 v134, v150                                   // 0000000077A8: 7F0C4596
	v_mov_b32_e32 v133, v132                                   // 0000000077AC: 7F0A0384
	v_mov_b32_e32 v135, v134                                   // 0000000077B0: 7F0E0386
	v_pk_add_f32 v[108:109], v[108:109], v[92:93]              // 0000000077B4: D3B2406C 1802B96C
	v_pk_add_f32 v[110:111], v[110:111], v[94:95]              // 0000000077BC: D3B2406E 1802BD6E
	v_pk_add_f32 v[112:113], v[112:113], v[96:97]              // 0000000077C4: D3B24070 1802C170
	v_pk_add_f32 v[114:115], v[114:115], v[98:99]              // 0000000077CC: D3B24072 1802C572
	v_pk_add_f32 v[116:117], v[116:117], v[100:101]            // 0000000077D4: D3B24074 1802C974
	v_pk_add_f32 v[118:119], v[118:119], v[102:103]            // 0000000077DC: D3B24076 1802CD76
	v_pk_add_f32 v[120:121], v[120:121], v[104:105]            // 0000000077E4: D3B24078 1802D178
	v_pk_add_f32 v[122:123], v[122:123], v[106:107]            // 0000000077EC: D3B2407A 1802D57A
	s_waitcnt lgkmcnt(0)                                       // 0000000077F4: BF8CC07F
	s_barrier                                                  // 0000000077F8: BF8A0000
	ds_read_b128 v[28:31], v217 offset:4608                    // 0000000077FC: D9FE1200 1C0000D9
	ds_read_b128 v[32:35], v217 offset:5632                    // 000000007804: D9FE1600 200000D9
	ds_read_b128 v[36:39], v217 offset:6656                    // 00000000780C: D9FE1A00 240000D9
	ds_read_b128 v[40:43], v217 offset:7680                    // 000000007814: D9FE1E00 280000D9
	ds_read_b128 v[44:47], v217 offset:8704                    // 00000000781C: D9FE2200 2C0000D9
	ds_read_b128 v[48:51], v217 offset:9728                    // 000000007824: D9FE2600 300000D9
	ds_read_b128 v[52:55], v217 offset:10752                   // 00000000782C: D9FE2A00 340000D9
	ds_read_b128 v[56:59], v217 offset:11776                   // 000000007834: D9FE2E00 380000D9
	s_waitcnt vmcnt(10)                                        // 00000000783C: BF8C0F7A
	s_waitcnt lgkmcnt(7)                                       // 000000007840: BF8CC77F
	v_mfma_f32_16x16x32_fp8_fp8 v[92:95], a[96:97], v[28:29], 0// 000000007844: D3F3005C 0A023960
	v_mfma_f32_16x16x32_fp8_fp8 v[96:99], a[112:113], v[28:29], 0// 00000000784C: D3F30060 0A023970
	v_mfma_f32_16x16x32_fp8_fp8 v[92:95], a[98:99], v[30:31], v[92:95]// 000000007854: D3F3005C 0D723D62
	buffer_load_dwordx4 a[64:67], v202, s[16:19], 0 offen      // 00000000785C: E05C1000 808440CA
	v_mfma_f32_16x16x32_fp8_fp8 v[96:99], a[114:115], v[30:31], v[96:99]// 000000007864: D3F30060 0D823D72
	s_waitcnt lgkmcnt(6)                                       // 00000000786C: BF8CC67F
	v_mfma_f32_16x16x32_fp8_fp8 v[92:95], a[100:101], v[32:33], v[92:95]// 000000007870: D3F3005C 0D724164
	v_mfma_f32_16x16x32_fp8_fp8 v[96:99], a[116:117], v[32:33], v[96:99]// 000000007878: D3F30060 0D824174
	v_mfma_f32_16x16x32_fp8_fp8 v[92:95], a[102:103], v[34:35], v[92:95]// 000000007880: D3F3005C 0D724566
	buffer_load_dwordx4 a[68:71], v203, s[16:19], 0 offen      // 000000007888: E05C1000 808444CB
	v_mfma_f32_16x16x32_fp8_fp8 v[96:99], a[118:119], v[34:35], v[96:99]// 000000007890: D3F30060 0D824576
	s_waitcnt lgkmcnt(5)                                       // 000000007898: BF8CC57F
	v_mfma_f32_16x16x32_fp8_fp8 v[92:95], a[104:105], v[36:37], v[92:95]// 00000000789C: D3F3005C 0D724968
	v_mfma_f32_16x16x32_fp8_fp8 v[96:99], a[120:121], v[36:37], v[96:99]// 0000000078A4: D3F30060 0D824978
	v_mfma_f32_16x16x32_fp8_fp8 v[92:95], a[106:107], v[38:39], v[92:95]// 0000000078AC: D3F3005C 0D724D6A
	buffer_load_dwordx4 a[72:75], v204, s[16:19], 0 offen      // 0000000078B4: E05C1000 808448CC
	v_mfma_f32_16x16x32_fp8_fp8 v[96:99], a[122:123], v[38:39], v[96:99]// 0000000078BC: D3F30060 0D824D7A
	s_waitcnt lgkmcnt(4)                                       // 0000000078C4: BF8CC47F
	v_mfma_f32_16x16x32_fp8_fp8 v[92:95], a[108:109], v[40:41], v[92:95]// 0000000078C8: D3F3005C 0D72516C
	v_mfma_f32_16x16x32_fp8_fp8 v[96:99], a[124:125], v[40:41], v[96:99]// 0000000078D0: D3F30060 0D82517C
	v_mfma_f32_16x16x32_fp8_fp8 v[92:95], a[110:111], v[42:43], v[92:95]// 0000000078D8: D3F3005C 0D72556E
	buffer_load_dwordx4 a[76:79], v205, s[16:19], 0 offen      // 0000000078E0: E05C1000 80844CCD
	v_mfma_f32_16x16x32_fp8_fp8 v[96:99], a[126:127], v[42:43], v[96:99]// 0000000078E8: D3F30060 0D82557E
	s_waitcnt lgkmcnt(3)                                       // 0000000078F0: BF8CC37F
	v_mfma_f32_16x16x32_fp8_fp8 v[100:103], a[96:97], v[44:45], 0// 0000000078F4: D3F30064 0A025960
	v_mfma_f32_16x16x32_fp8_fp8 v[104:107], a[112:113], v[44:45], 0// 0000000078FC: D3F30068 0A025970
	v_mfma_f32_16x16x32_fp8_fp8 v[100:103], a[98:99], v[46:47], v[100:103]// 000000007904: D3F30064 0D925D62
	buffer_load_dwordx4 a[80:83], v202, s[16:19], 0 offen offset:1024// 00000000790C: E05C1400 808450CA
	v_mfma_f32_16x16x32_fp8_fp8 v[104:107], a[114:115], v[46:47], v[104:107]// 000000007914: D3F30068 0DA25D72
	s_waitcnt lgkmcnt(2)                                       // 00000000791C: BF8CC27F
	v_mfma_f32_16x16x32_fp8_fp8 v[100:103], a[100:101], v[48:49], v[100:103]// 000000007920: D3F30064 0D926164
	v_mfma_f32_16x16x32_fp8_fp8 v[104:107], a[116:117], v[48:49], v[104:107]// 000000007928: D3F30068 0DA26174
	v_mfma_f32_16x16x32_fp8_fp8 v[100:103], a[102:103], v[50:51], v[100:103]// 000000007930: D3F30064 0D926566
	buffer_load_dwordx4 a[84:87], v203, s[16:19], 0 offen offset:1024// 000000007938: E05C1400 808454CB
	v_mfma_f32_16x16x32_fp8_fp8 v[104:107], a[118:119], v[50:51], v[104:107]// 000000007940: D3F30068 0DA26576
	s_waitcnt lgkmcnt(1)                                       // 000000007948: BF8CC17F
	v_mfma_f32_16x16x32_fp8_fp8 v[100:103], a[104:105], v[52:53], v[100:103]// 00000000794C: D3F30064 0D926968
	v_mfma_f32_16x16x32_fp8_fp8 v[104:107], a[120:121], v[52:53], v[104:107]// 000000007954: D3F30068 0DA26978
	v_mfma_f32_16x16x32_fp8_fp8 v[100:103], a[106:107], v[54:55], v[100:103]// 00000000795C: D3F30064 0D926D6A
	buffer_load_dwordx4 a[88:91], v204, s[16:19], 0 offen offset:1024// 000000007964: E05C1400 808458CC
	v_mfma_f32_16x16x32_fp8_fp8 v[104:107], a[122:123], v[54:55], v[104:107]// 00000000796C: D3F30068 0DA26D7A
	s_waitcnt lgkmcnt(0)                                       // 000000007974: BF8CC07F
	v_mfma_f32_16x16x32_fp8_fp8 v[100:103], a[108:109], v[56:57], v[100:103]// 000000007978: D3F30064 0D92716C
	v_mfma_f32_16x16x32_fp8_fp8 v[104:107], a[124:125], v[56:57], v[104:107]// 000000007980: D3F30068 0DA2717C
	v_mfma_f32_16x16x32_fp8_fp8 v[100:103], a[110:111], v[58:59], v[100:103]// 000000007988: D3F30064 0D92756E
	buffer_load_dwordx4 a[92:95], v205, s[16:19], 0 offen offset:1024// 000000007990: E05C1400 80845CCD
	v_mfma_f32_16x16x32_fp8_fp8 v[104:107], a[126:127], v[58:59], v[104:107]// 000000007998: D3F30068 0DA2757E
	s_addk_i32 s49, 0x100                                      // 0000000079A0: B7310100
	s_cmp_lt_i32 s49, s50                                      // 0000000079A4: BF043231
	s_cbranch_scc0 label_2512                                  // 0000000079A8: BF840EE7
	s_waitcnt vmcnt(10)                                        // 0000000079AC: BF8C0F7A
	v_mfma_f32_16x16x32_fp8_fp8 v[28:31], a[0:1], v[12:13], 0  // 0000000079B0: D3F3001C 0A021900
	s_add_u32 s12, s84, s64                                    // 0000000079B8: 800C4054
	s_addc_u32 s13, s85, 0                                     // 0000000079BC: 820D8055
	v_mfma_f32_16x16x32_fp8_fp8 v[28:31], a[2:3], v[14:15], v[28:31]// 0000000079C0: D3F3001C 0C721D02
	s_add_u32 s16, s86, s65                                    // 0000000079C8: 80104156
	s_addc_u32 s17, s87, 0                                     // 0000000079CC: 82118057
	v_mfma_f32_16x16x32_fp8_fp8 v[28:31], a[4:5], v[16:17], v[28:31]// 0000000079D0: D3F3001C 0C722104
	buffer_load_dwordx4 a[32:35], v200, s[12:15], 0 offen      // 0000000079D8: E05C1000 808320C8
	v_mfma_f32_16x16x32_fp8_fp8 v[28:31], a[6:7], v[18:19], v[28:31]// 0000000079E0: D3F3001C 0C722506
	s_add_u32 s28, s88, s66                                    // 0000000079E8: 801C4258
	s_addc_u32 s29, s89, 0                                     // 0000000079EC: 821D8059
	v_mfma_f32_16x16x32_fp8_fp8 v[32:35], a[8:9], v[12:13], 0  // 0000000079F0: D3F30020 0A021908
	s_add_u32 s32, s90, s66                                    // 0000000079F8: 8020425A
	s_addc_u32 s33, s91, 0                                     // 0000000079FC: 8221805B
	v_mfma_f32_16x16x32_fp8_fp8 v[32:35], a[10:11], v[14:15], v[32:35]// 000000007A00: D3F30020 0C821D0A
	s_mul_i32 s64, s61, s56                                    // 000000007A08: 9240383D
	s_mov_b32 s65, s64                                         // 000000007A0C: BEC10040
	v_mfma_f32_16x16x32_fp8_fp8 v[32:35], a[12:13], v[16:17], v[32:35]// 000000007A10: D3F30020 0C82210C
	buffer_load_dwordx4 a[36:39], v201, s[12:15], 0 offen      // 000000007A18: E05C1000 808324C9
	v_mfma_f32_16x16x32_fp8_fp8 v[32:35], a[14:15], v[18:19], v[32:35]// 000000007A20: D3F30020 0C82250E
	s_mul_i32 s66, s61, s58                                    // 000000007A28: 92423A3D
	v_mfma_f32_16x16x32_fp8_fp8 v[36:39], a[16:17], v[12:13], 0// 000000007A2C: D3F30024 0A021910
	v_mfma_f32_16x16x32_fp8_fp8 v[36:39], a[18:19], v[14:15], v[36:39]// 000000007A34: D3F30024 0C921D12
	v_mfma_f32_16x16x32_fp8_fp8 v[36:39], a[20:21], v[16:17], v[36:39]// 000000007A3C: D3F30024 0C922114
	buffer_load_dwordx4 a[40:43], v200, s[12:15], 0 offen offset:1024// 000000007A44: E05C1400 808328C8
	v_mfma_f32_16x16x32_fp8_fp8 v[36:39], a[22:23], v[18:19], v[36:39]// 000000007A4C: D3F30024 0C922516
	v_mfma_f32_16x16x32_fp8_fp8 v[40:43], a[24:25], v[12:13], 0// 000000007A54: D3F30028 0A021918
	v_mfma_f32_16x16x32_fp8_fp8 v[40:43], a[26:27], v[14:15], v[40:43]// 000000007A5C: D3F30028 0CA21D1A
	v_mfma_f32_16x16x32_fp8_fp8 v[40:43], a[28:29], v[16:17], v[40:43]// 000000007A64: D3F30028 0CA2211C
	buffer_load_dwordx4 a[44:47], v201, s[12:15], 0 offen offset:1024// 000000007A6C: E05C1400 80832CC9
	v_mfma_f32_16x16x32_fp8_fp8 v[40:43], a[30:31], v[18:19], v[40:43]// 000000007A74: D3F30028 0CA2251E
	v_mfma_f32_16x16x32_fp8_fp8 v[44:47], a[0:1], v[20:21], 0  // 000000007A7C: D3F3002C 0A022900
	v_mfma_f32_16x16x32_fp8_fp8 v[44:47], a[2:3], v[22:23], v[44:47]// 000000007A84: D3F3002C 0CB22D02
	v_mfma_f32_16x16x32_fp8_fp8 v[44:47], a[4:5], v[24:25], v[44:47]// 000000007A8C: D3F3002C 0CB23104
	buffer_load_dwordx4 a[48:51], v200, s[12:15], 0 offen offset:2048// 000000007A94: E05C1800 808330C8
	v_mfma_f32_16x16x32_fp8_fp8 v[44:47], a[6:7], v[26:27], v[44:47]// 000000007A9C: D3F3002C 0CB23506
	v_mfma_f32_16x16x32_fp8_fp8 v[48:51], a[8:9], v[20:21], 0  // 000000007AA4: D3F30030 0A022908
	v_mfma_f32_16x16x32_fp8_fp8 v[48:51], a[10:11], v[22:23], v[48:51]// 000000007AAC: D3F30030 0CC22D0A
	v_mfma_f32_16x16x32_fp8_fp8 v[48:51], a[12:13], v[24:25], v[48:51]// 000000007AB4: D3F30030 0CC2310C
	buffer_load_dwordx4 a[52:55], v201, s[12:15], 0 offen offset:2048// 000000007ABC: E05C1800 808334C9
	v_mfma_f32_16x16x32_fp8_fp8 v[48:51], a[14:15], v[26:27], v[48:51]// 000000007AC4: D3F30030 0CC2350E
	v_mfma_f32_16x16x32_fp8_fp8 v[52:55], a[16:17], v[20:21], 0// 000000007ACC: D3F30034 0A022910
	v_mfma_f32_16x16x32_fp8_fp8 v[52:55], a[18:19], v[22:23], v[52:55]// 000000007AD4: D3F30034 0CD22D12
	v_mfma_f32_16x16x32_fp8_fp8 v[52:55], a[20:21], v[24:25], v[52:55]// 000000007ADC: D3F30034 0CD23114
	buffer_load_dwordx4 a[56:59], v200, s[12:15], 0 offen offset:3072// 000000007AE4: E05C1C00 808338C8
	v_mfma_f32_16x16x32_fp8_fp8 v[52:55], a[22:23], v[26:27], v[52:55]// 000000007AEC: D3F30034 0CD23516
	v_mfma_f32_16x16x32_fp8_fp8 v[56:59], a[24:25], v[20:21], 0// 000000007AF4: D3F30038 0A022918
	v_mfma_f32_16x16x32_fp8_fp8 v[56:59], a[26:27], v[22:23], v[56:59]// 000000007AFC: D3F30038 0CE22D1A
	v_mfma_f32_16x16x32_fp8_fp8 v[56:59], a[28:29], v[24:25], v[56:59]// 000000007B04: D3F30038 0CE2311C
	buffer_load_dwordx4 a[60:63], v201, s[12:15], 0 offen offset:3072// 000000007B0C: E05C1C00 80833CC9
	v_mfma_f32_16x16x32_fp8_fp8 v[56:59], a[30:31], v[26:27], v[56:59]// 000000007B14: D3F30038 0CE2351E
	s_waitcnt vmcnt(16)                                        // 000000007B1C: BF8C4F70
	v_pk_mul_f32 v[28:29], v[124:125], v[28:29]                // 000000007B20: D3B1401C 1802397C
	v_pk_mul_f32 v[30:31], v[124:125], v[30:31]                // 000000007B28: D3B1401E 18023D7C
	v_mul_f32_dpp v28, v128, v28 row_newbcast:0 row_mask:0xf bank_mask:0xf// 000000007B30: 0A3838FA FF015080
	v_mul_f32_dpp v29, v128, v29 row_newbcast:1 row_mask:0xf bank_mask:0xf// 000000007B38: 0A3A3AFA FF015180
	v_mul_f32_dpp v30, v128, v30 row_newbcast:2 row_mask:0xf bank_mask:0xf// 000000007B40: 0A3C3CFA FF015280
	v_mul_f32_dpp v31, v128, v31 row_newbcast:3 row_mask:0xf bank_mask:0xf// 000000007B48: 0A3E3EFA FF015380
	v_pk_mul_f32 v[32:33], v[124:125], v[32:33]                // 000000007B50: D3B14020 1802417C
	v_pk_mul_f32 v[34:35], v[124:125], v[34:35]                // 000000007B58: D3B14022 1802457C
	v_mul_f32_dpp v32, v128, v32 row_newbcast:4 row_mask:0xf bank_mask:0xf// 000000007B60: 0A4040FA FF015480
	v_mul_f32_dpp v33, v128, v33 row_newbcast:5 row_mask:0xf bank_mask:0xf// 000000007B68: 0A4242FA FF015580
	v_mul_f32_dpp v34, v128, v34 row_newbcast:6 row_mask:0xf bank_mask:0xf// 000000007B70: 0A4444FA FF015680
	v_mul_f32_dpp v35, v128, v35 row_newbcast:7 row_mask:0xf bank_mask:0xf// 000000007B78: 0A4646FA FF015780
	v_pk_mul_f32 v[36:37], v[124:125], v[36:37]                // 000000007B80: D3B14024 1802497C
	v_pk_mul_f32 v[38:39], v[124:125], v[38:39]                // 000000007B88: D3B14026 18024D7C
	v_mul_f32_dpp v36, v128, v36 row_newbcast:8 row_mask:0xf bank_mask:0xf// 000000007B90: 0A4848FA FF015880
	v_mul_f32_dpp v37, v128, v37 row_newbcast:9 row_mask:0xf bank_mask:0xf// 000000007B98: 0A4A4AFA FF015980
	v_mul_f32_dpp v38, v128, v38 row_newbcast:10 row_mask:0xf bank_mask:0xf// 000000007BA0: 0A4C4CFA FF015A80
	v_mul_f32_dpp v39, v128, v39 row_newbcast:11 row_mask:0xf bank_mask:0xf// 000000007BA8: 0A4E4EFA FF015B80
	v_pk_mul_f32 v[40:41], v[124:125], v[40:41]                // 000000007BB0: D3B14028 1802517C
	v_pk_mul_f32 v[42:43], v[124:125], v[42:43]                // 000000007BB8: D3B1402A 1802557C
	v_mul_f32_dpp v40, v128, v40 row_newbcast:12 row_mask:0xf bank_mask:0xf// 000000007BC0: 0A5050FA FF015C80
	v_mul_f32_dpp v41, v128, v41 row_newbcast:13 row_mask:0xf bank_mask:0xf// 000000007BC8: 0A5252FA FF015D80
	v_mul_f32_dpp v42, v128, v42 row_newbcast:14 row_mask:0xf bank_mask:0xf// 000000007BD0: 0A5454FA FF015E80
	v_mul_f32_dpp v43, v128, v43 row_newbcast:15 row_mask:0xf bank_mask:0xf// 000000007BD8: 0A5656FA FF015F80
	v_pk_mul_f32 v[44:45], v[126:127], v[44:45]                // 000000007BE0: D3B1402C 1802597E
	v_pk_mul_f32 v[46:47], v[126:127], v[46:47]                // 000000007BE8: D3B1402E 18025D7E
	v_mul_f32_dpp v44, v128, v44 row_newbcast:0 row_mask:0xf bank_mask:0xf// 000000007BF0: 0A5858FA FF015080
	v_mul_f32_dpp v45, v128, v45 row_newbcast:1 row_mask:0xf bank_mask:0xf// 000000007BF8: 0A5A5AFA FF015180
	v_mul_f32_dpp v46, v128, v46 row_newbcast:2 row_mask:0xf bank_mask:0xf// 000000007C00: 0A5C5CFA FF015280
	v_mul_f32_dpp v47, v128, v47 row_newbcast:3 row_mask:0xf bank_mask:0xf// 000000007C08: 0A5E5EFA FF015380
	v_pk_mul_f32 v[48:49], v[126:127], v[48:49]                // 000000007C10: D3B14030 1802617E
	v_pk_mul_f32 v[50:51], v[126:127], v[50:51]                // 000000007C18: D3B14032 1802657E
	v_mul_f32_dpp v48, v128, v48 row_newbcast:4 row_mask:0xf bank_mask:0xf// 000000007C20: 0A6060FA FF015480
	v_mul_f32_dpp v49, v128, v49 row_newbcast:5 row_mask:0xf bank_mask:0xf// 000000007C28: 0A6262FA FF015580
	v_mul_f32_dpp v50, v128, v50 row_newbcast:6 row_mask:0xf bank_mask:0xf// 000000007C30: 0A6464FA FF015680
	v_mul_f32_dpp v51, v128, v51 row_newbcast:7 row_mask:0xf bank_mask:0xf// 000000007C38: 0A6666FA FF015780
	v_pk_mul_f32 v[52:53], v[126:127], v[52:53]                // 000000007C40: D3B14034 1802697E
	v_pk_mul_f32 v[54:55], v[126:127], v[54:55]                // 000000007C48: D3B14036 18026D7E
	v_mul_f32_dpp v52, v128, v52 row_newbcast:8 row_mask:0xf bank_mask:0xf// 000000007C50: 0A6868FA FF015880
	v_mul_f32_dpp v53, v128, v53 row_newbcast:9 row_mask:0xf bank_mask:0xf// 000000007C58: 0A6A6AFA FF015980
	v_mul_f32_dpp v54, v128, v54 row_newbcast:10 row_mask:0xf bank_mask:0xf// 000000007C60: 0A6C6CFA FF015A80
	v_mul_f32_dpp v55, v128, v55 row_newbcast:11 row_mask:0xf bank_mask:0xf// 000000007C68: 0A6E6EFA FF015B80
	v_pk_mul_f32 v[56:57], v[126:127], v[56:57]                // 000000007C70: D3B14038 1802717E
	v_pk_mul_f32 v[58:59], v[126:127], v[58:59]                // 000000007C78: D3B1403A 1802757E
	v_mul_f32_dpp v56, v128, v56 row_newbcast:12 row_mask:0xf bank_mask:0xf// 000000007C80: 0A7070FA FF015C80
	v_mul_f32_dpp v57, v128, v57 row_newbcast:13 row_mask:0xf bank_mask:0xf// 000000007C88: 0A7272FA FF015D80
	v_mul_f32_dpp v58, v128, v58 row_newbcast:14 row_mask:0xf bank_mask:0xf// 000000007C90: 0A7474FA FF015E80
	v_mul_f32_dpp v59, v128, v59 row_newbcast:15 row_mask:0xf bank_mask:0xf// 000000007C98: 0A7676FA FF015F80
	v_mov_b32_e32 v148, v28                                    // 000000007CA0: 7F28031C
	v_max3_f32 v148, v28, v29, v148                            // 000000007CA4: D1D30094 06523B1C
	v_max3_f32 v148, v30, v31, v148                            // 000000007CAC: D1D30094 06523F1E
	v_max3_f32 v148, v32, v33, v148                            // 000000007CB4: D1D30094 06524320
	v_max3_f32 v148, v34, v35, v148                            // 000000007CBC: D1D30094 06524722
	v_max3_f32 v148, v36, v37, v148                            // 000000007CC4: D1D30094 06524B24
	v_max3_f32 v148, v38, v39, v148                            // 000000007CCC: D1D30094 06524F26
	v_max3_f32 v148, v40, v41, v148                            // 000000007CD4: D1D30094 06525328
	v_max3_f32 v148, v42, v43, v148                            // 000000007CDC: D1D30094 0652572A
	v_mov_b32_e32 v149, v44                                    // 000000007CE4: 7F2A032C
	v_max3_f32 v149, v44, v45, v149                            // 000000007CE8: D1D30095 06565B2C
	v_max3_f32 v149, v46, v47, v149                            // 000000007CF0: D1D30095 06565F2E
	v_max3_f32 v149, v48, v49, v149                            // 000000007CF8: D1D30095 06566330
	v_max3_f32 v149, v50, v51, v149                            // 000000007D00: D1D30095 06566732
	v_max3_f32 v149, v52, v53, v149                            // 000000007D08: D1D30095 06566B34
	v_max3_f32 v149, v54, v55, v149                            // 000000007D10: D1D30095 06566F36
	v_max3_f32 v149, v56, v57, v149                            // 000000007D18: D1D30095 06567338
	v_max3_f32 v149, v58, v59, v149                            // 000000007D20: D1D30095 0656773A
	ds_write_b64 v214, v[148:149]                              // 000000007D28: D89A0000 000094D6
	v_pk_mul_f32 v[108:109], v[140:141], v[108:109]            // 000000007D30: D3B1406C 1802D98C
	v_pk_mul_f32 v[110:111], v[140:141], v[110:111]            // 000000007D38: D3B1406E 1802DD8C
	v_pk_mul_f32 v[112:113], v[140:141], v[112:113]            // 000000007D40: D3B14070 1802E18C
	v_pk_mul_f32 v[114:115], v[140:141], v[114:115]            // 000000007D48: D3B14072 1802E58C
	v_pk_mul_f32 v[116:117], v[142:143], v[116:117]            // 000000007D50: D3B14074 1802E98E
	v_pk_mul_f32 v[118:119], v[142:143], v[118:119]            // 000000007D58: D3B14076 1802ED8E
	v_pk_mul_f32 v[120:121], v[142:143], v[120:121]            // 000000007D60: D3B14078 1802F18E
	v_pk_mul_f32 v[122:123], v[142:143], v[122:123]            // 000000007D68: D3B1407A 1802F58E
	s_waitcnt lgkmcnt(0)                                       // 000000007D70: BF8CC07F
	s_barrier                                                  // 000000007D74: BF8A0000
	v_pk_mul_f32 v[92:93], v[132:133], v[92:93]                // 000000007D78: D3B1405C 1802B984
	v_pk_mul_f32 v[94:95], v[132:133], v[94:95]                // 000000007D80: D3B1405E 1802BD84
	v_pk_mul_f32 v[96:97], v[132:133], v[96:97]                // 000000007D88: D3B14060 1802C184
	v_pk_mul_f32 v[98:99], v[132:133], v[98:99]                // 000000007D90: D3B14062 1802C584
	v_pk_mul_f32 v[100:101], v[134:135], v[100:101]            // 000000007D98: D3B14064 1802C986
	v_pk_mul_f32 v[102:103], v[134:135], v[102:103]            // 000000007DA0: D3B14066 1802CD86
	v_pk_mul_f32 v[104:105], v[134:135], v[104:105]            // 000000007DA8: D3B14068 1802D186
	v_pk_mul_f32 v[106:107], v[134:135], v[106:107]            // 000000007DB0: D3B1406A 1802D586
	ds_read_b64 v[152:153], v215                               // 000000007DB8: D8EC0000 980000D7
	ds_read_b64 v[154:155], v215 offset:128                    // 000000007DC0: D8EC0080 9A0000D7
	ds_read_b64 v[156:157], v215 offset:256                    // 000000007DC8: D8EC0100 9C0000D7
	ds_read_b64 v[158:159], v215 offset:384                    // 000000007DD0: D8EC0180 9E0000D7
	ds_read_b64 v[160:161], v215 offset:512                    // 000000007DD8: D8EC0200 A00000D7
	ds_read_b64 v[162:163], v215 offset:640                    // 000000007DE0: D8EC0280 A20000D7
	ds_read_b64 v[164:165], v215 offset:768                    // 000000007DE8: D8EC0300 A40000D7
	ds_read_b64 v[166:167], v215 offset:896                    // 000000007DF0: D8EC0380 A60000D7
	ds_read_b64 v[168:169], v215 offset:1024                   // 000000007DF8: D8EC0400 A80000D7
	ds_read_b64 v[170:171], v215 offset:1152                   // 000000007E00: D8EC0480 AA0000D7
	ds_read_b64 v[172:173], v215 offset:1280                   // 000000007E08: D8EC0500 AC0000D7
	ds_read_b64 v[174:175], v215 offset:1408                   // 000000007E10: D8EC0580 AE0000D7
	ds_read_b64 v[176:177], v215 offset:1536                   // 000000007E18: D8EC0600 B00000D7
	ds_read_b64 v[178:179], v215 offset:1664                   // 000000007E20: D8EC0680 B20000D7
	ds_read_b64 v[180:181], v215 offset:1792                   // 000000007E28: D8EC0700 B40000D7
	ds_read_b64 v[182:183], v215 offset:1920                   // 000000007E30: D8EC0780 B60000D7
	s_waitcnt lgkmcnt(0)                                       // 000000007E38: BF8CC07F
	v_max3_f32 v148, v152, v154, v148                          // 000000007E3C: D1D30094 06533598
	v_max3_f32 v149, v153, v155, v149                          // 000000007E44: D1D30095 06573799
	v_max3_f32 v148, v156, v158, v148                          // 000000007E4C: D1D30094 06533D9C
	v_max3_f32 v149, v157, v159, v149                          // 000000007E54: D1D30095 06573F9D
	v_max3_f32 v148, v160, v162, v148                          // 000000007E5C: D1D30094 065345A0
	v_max3_f32 v149, v161, v163, v149                          // 000000007E64: D1D30095 065747A1
	v_max3_f32 v148, v164, v166, v148                          // 000000007E6C: D1D30094 06534DA4
	v_max3_f32 v149, v165, v167, v149                          // 000000007E74: D1D30095 06574FA5
	v_max3_f32 v148, v168, v170, v148                          // 000000007E7C: D1D30094 065355A8
	v_max3_f32 v149, v169, v171, v149                          // 000000007E84: D1D30095 065757A9
	v_max3_f32 v148, v172, v174, v148                          // 000000007E8C: D1D30094 06535DAC
	v_max3_f32 v149, v173, v175, v149                          // 000000007E94: D1D30095 06575FAD
	v_max3_f32 v148, v176, v178, v148                          // 000000007E9C: D1D30094 065365B0
	v_max3_f32 v149, v177, v179, v149                          // 000000007EA4: D1D30095 065767B1
	v_max3_f32 v148, v180, v182, v148                          // 000000007EAC: D1D30094 06536DB4
	v_max3_f32 v149, v181, v183, v149                          // 000000007EB4: D1D30095 06576FB5
	v_max_f32_e32 v138, v148, v136                             // 000000007EBC: 17151194
	v_mul_f32_e64 v184, -s51, v138                             // 000000007EC0: D10500B8 20031433
	v_mov_b32_e32 v185, v184                                   // 000000007EC8: 7F7203B8
	v_pk_fma_f32 v[28:29], v[28:29], s[68:69], v[184:185]      // 000000007ECC: D3B0401C 1EE0891C
	v_pk_fma_f32 v[30:31], v[30:31], s[68:69], v[184:185]      // 000000007ED4: D3B0401E 1EE0891E
	v_exp_f32_e32 v28, v28                                     // 000000007EDC: 7E38411C
	v_exp_f32_e32 v29, v29                                     // 000000007EE0: 7E3A411D
	v_exp_f32_e32 v30, v30                                     // 000000007EE4: 7E3C411E
	v_exp_f32_e32 v31, v31                                     // 000000007EE8: 7E3E411F
	v_pk_fma_f32 v[32:33], v[32:33], s[68:69], v[184:185]      // 000000007EEC: D3B04020 1EE08920
	v_pk_fma_f32 v[34:35], v[34:35], s[68:69], v[184:185]      // 000000007EF4: D3B04022 1EE08922
	v_exp_f32_e32 v32, v32                                     // 000000007EFC: 7E404120
	v_exp_f32_e32 v33, v33                                     // 000000007F00: 7E424121
	v_exp_f32_e32 v34, v34                                     // 000000007F04: 7E444122
	v_exp_f32_e32 v35, v35                                     // 000000007F08: 7E464123
	v_pk_fma_f32 v[36:37], v[36:37], s[68:69], v[184:185]      // 000000007F0C: D3B04024 1EE08924
	v_pk_fma_f32 v[38:39], v[38:39], s[68:69], v[184:185]      // 000000007F14: D3B04026 1EE08926
	v_exp_f32_e32 v36, v36                                     // 000000007F1C: 7E484124
	v_exp_f32_e32 v37, v37                                     // 000000007F20: 7E4A4125
	v_exp_f32_e32 v38, v38                                     // 000000007F24: 7E4C4126
	v_exp_f32_e32 v39, v39                                     // 000000007F28: 7E4E4127
	v_pk_fma_f32 v[40:41], v[40:41], s[68:69], v[184:185]      // 000000007F2C: D3B04028 1EE08928
	v_pk_fma_f32 v[42:43], v[42:43], s[68:69], v[184:185]      // 000000007F34: D3B0402A 1EE0892A
	v_exp_f32_e32 v40, v40                                     // 000000007F3C: 7E504128
	v_exp_f32_e32 v41, v41                                     // 000000007F40: 7E524129
	v_exp_f32_e32 v42, v42                                     // 000000007F44: 7E54412A
	v_exp_f32_e32 v43, v43                                     // 000000007F48: 7E56412B
	v_max_f32_e32 v139, v149, v137                             // 000000007F4C: 17171395
	v_mul_f32_e64 v184, -s51, v139                             // 000000007F50: D10500B8 20031633
	v_mov_b32_e32 v185, v184                                   // 000000007F58: 7F7203B8
	v_pk_fma_f32 v[44:45], v[44:45], s[68:69], v[184:185]      // 000000007F5C: D3B0402C 1EE0892C
	v_pk_fma_f32 v[46:47], v[46:47], s[68:69], v[184:185]      // 000000007F64: D3B0402E 1EE0892E
	v_exp_f32_e32 v44, v44                                     // 000000007F6C: 7E58412C
	v_exp_f32_e32 v45, v45                                     // 000000007F70: 7E5A412D
	v_exp_f32_e32 v46, v46                                     // 000000007F74: 7E5C412E
	v_exp_f32_e32 v47, v47                                     // 000000007F78: 7E5E412F
	v_pk_fma_f32 v[48:49], v[48:49], s[68:69], v[184:185]      // 000000007F7C: D3B04030 1EE08930
	v_pk_fma_f32 v[50:51], v[50:51], s[68:69], v[184:185]      // 000000007F84: D3B04032 1EE08932
	v_exp_f32_e32 v48, v48                                     // 000000007F8C: 7E604130
	v_exp_f32_e32 v49, v49                                     // 000000007F90: 7E624131
	v_exp_f32_e32 v50, v50                                     // 000000007F94: 7E644132
	v_exp_f32_e32 v51, v51                                     // 000000007F98: 7E664133
	v_pk_fma_f32 v[52:53], v[52:53], s[68:69], v[184:185]      // 000000007F9C: D3B04034 1EE08934
	v_pk_fma_f32 v[54:55], v[54:55], s[68:69], v[184:185]      // 000000007FA4: D3B04036 1EE08936
	v_exp_f32_e32 v52, v52                                     // 000000007FAC: 7E684134
	v_exp_f32_e32 v53, v53                                     // 000000007FB0: 7E6A4135
	v_exp_f32_e32 v54, v54                                     // 000000007FB4: 7E6C4136
	v_exp_f32_e32 v55, v55                                     // 000000007FB8: 7E6E4137
	v_pk_fma_f32 v[56:57], v[56:57], s[68:69], v[184:185]      // 000000007FBC: D3B04038 1EE08938
	v_pk_fma_f32 v[58:59], v[58:59], s[68:69], v[184:185]      // 000000007FC4: D3B0403A 1EE0893A
	v_exp_f32_e32 v56, v56                                     // 000000007FCC: 7E704138
	v_exp_f32_e32 v57, v57                                     // 000000007FD0: 7E724139
	v_exp_f32_e32 v58, v58                                     // 000000007FD4: 7E74413A
	v_exp_f32_e32 v59, v59                                     // 000000007FD8: 7E76413B
	v_mul_f32_dpp v60, v130, v28 row_newbcast:0 row_mask:0xf bank_mask:0xf// 000000007FDC: 0A7838FA FF015082
	v_mul_f32_dpp v61, v130, v29 row_newbcast:1 row_mask:0xf bank_mask:0xf// 000000007FE4: 0A7A3AFA FF015182
	v_mul_f32_dpp v62, v130, v30 row_newbcast:2 row_mask:0xf bank_mask:0xf// 000000007FEC: 0A7C3CFA FF015282
	v_mul_f32_dpp v63, v130, v31 row_newbcast:3 row_mask:0xf bank_mask:0xf// 000000007FF4: 0A7E3EFA FF015382
	v_mul_f32_dpp v64, v130, v32 row_newbcast:4 row_mask:0xf bank_mask:0xf// 000000007FFC: 0A8040FA FF015482
	v_mul_f32_dpp v65, v130, v33 row_newbcast:5 row_mask:0xf bank_mask:0xf// 000000008004: 0A8242FA FF015582
	v_mul_f32_dpp v66, v130, v34 row_newbcast:6 row_mask:0xf bank_mask:0xf// 00000000800C: 0A8444FA FF015682
	v_mul_f32_dpp v67, v130, v35 row_newbcast:7 row_mask:0xf bank_mask:0xf// 000000008014: 0A8646FA FF015782
	v_mul_f32_dpp v68, v130, v36 row_newbcast:8 row_mask:0xf bank_mask:0xf// 00000000801C: 0A8848FA FF015882
	v_mul_f32_dpp v69, v130, v37 row_newbcast:9 row_mask:0xf bank_mask:0xf// 000000008024: 0A8A4AFA FF015982
	v_mul_f32_dpp v70, v130, v38 row_newbcast:10 row_mask:0xf bank_mask:0xf// 00000000802C: 0A8C4CFA FF015A82
	v_mul_f32_dpp v71, v130, v39 row_newbcast:11 row_mask:0xf bank_mask:0xf// 000000008034: 0A8E4EFA FF015B82
	v_mul_f32_dpp v72, v130, v40 row_newbcast:12 row_mask:0xf bank_mask:0xf// 00000000803C: 0A9050FA FF015C82
	v_mul_f32_dpp v73, v130, v41 row_newbcast:13 row_mask:0xf bank_mask:0xf// 000000008044: 0A9252FA FF015D82
	v_mul_f32_dpp v74, v130, v42 row_newbcast:14 row_mask:0xf bank_mask:0xf// 00000000804C: 0A9454FA FF015E82
	v_mul_f32_dpp v75, v130, v43 row_newbcast:15 row_mask:0xf bank_mask:0xf// 000000008054: 0A9656FA FF015F82
	v_mul_f32_dpp v76, v130, v44 row_newbcast:0 row_mask:0xf bank_mask:0xf// 00000000805C: 0A9858FA FF015082
	v_mul_f32_dpp v77, v130, v45 row_newbcast:1 row_mask:0xf bank_mask:0xf// 000000008064: 0A9A5AFA FF015182
	v_mul_f32_dpp v78, v130, v46 row_newbcast:2 row_mask:0xf bank_mask:0xf// 00000000806C: 0A9C5CFA FF015282
	v_mul_f32_dpp v79, v130, v47 row_newbcast:3 row_mask:0xf bank_mask:0xf// 000000008074: 0A9E5EFA FF015382
	v_mul_f32_dpp v80, v130, v48 row_newbcast:4 row_mask:0xf bank_mask:0xf// 00000000807C: 0AA060FA FF015482
	v_mul_f32_dpp v81, v130, v49 row_newbcast:5 row_mask:0xf bank_mask:0xf// 000000008084: 0AA262FA FF015582
	v_mul_f32_dpp v82, v130, v50 row_newbcast:6 row_mask:0xf bank_mask:0xf// 00000000808C: 0AA464FA FF015682
	v_mul_f32_dpp v83, v130, v51 row_newbcast:7 row_mask:0xf bank_mask:0xf// 000000008094: 0AA666FA FF015782
	v_mul_f32_dpp v84, v130, v52 row_newbcast:8 row_mask:0xf bank_mask:0xf// 00000000809C: 0AA868FA FF015882
	v_mul_f32_dpp v85, v130, v53 row_newbcast:9 row_mask:0xf bank_mask:0xf// 0000000080A4: 0AAA6AFA FF015982
	v_mul_f32_dpp v86, v130, v54 row_newbcast:10 row_mask:0xf bank_mask:0xf// 0000000080AC: 0AAC6CFA FF015A82
	v_mul_f32_dpp v87, v130, v55 row_newbcast:11 row_mask:0xf bank_mask:0xf// 0000000080B4: 0AAE6EFA FF015B82
	v_mul_f32_dpp v88, v130, v56 row_newbcast:12 row_mask:0xf bank_mask:0xf// 0000000080BC: 0AB070FA FF015C82
	v_mul_f32_dpp v89, v130, v57 row_newbcast:13 row_mask:0xf bank_mask:0xf// 0000000080C4: 0AB272FA FF015D82
	v_mul_f32_dpp v90, v130, v58 row_newbcast:14 row_mask:0xf bank_mask:0xf// 0000000080CC: 0AB474FA FF015E82
	v_mul_f32_dpp v91, v130, v59 row_newbcast:15 row_mask:0xf bank_mask:0xf// 0000000080D4: 0AB676FA FF015F82
	v_mov_b32_e32 v148, 0x358637bd                             // 0000000080DC: 7F2802FF 358637BD
	v_max3_f32 v148, |v60|, |v61|, v148                        // 0000000080E4: D1D30394 06527B3C
	v_max3_f32 v148, |v62|, |v63|, v148                        // 0000000080EC: D1D30394 06527F3E
	v_max3_f32 v148, |v64|, |v65|, v148                        // 0000000080F4: D1D30394 06528340
	v_max3_f32 v148, |v66|, |v67|, v148                        // 0000000080FC: D1D30394 06528742
	v_max3_f32 v148, |v68|, |v69|, v148                        // 000000008104: D1D30394 06528B44
	v_max3_f32 v148, |v70|, |v71|, v148                        // 00000000810C: D1D30394 06528F46
	v_max3_f32 v148, |v72|, |v73|, v148                        // 000000008114: D1D30394 06529348
	v_max3_f32 v148, |v74|, |v75|, v148                        // 00000000811C: D1D30394 0652974A
	v_mov_b32_e32 v149, 0x358637bd                             // 000000008124: 7F2A02FF 358637BD
	v_max3_f32 v149, |v76|, |v77|, v149                        // 00000000812C: D1D30395 06569B4C
	v_max3_f32 v149, |v78|, |v79|, v149                        // 000000008134: D1D30395 06569F4E
	v_max3_f32 v149, |v80|, |v81|, v149                        // 00000000813C: D1D30395 0656A350
	v_max3_f32 v149, |v82|, |v83|, v149                        // 000000008144: D1D30395 0656A752
	v_max3_f32 v149, |v84|, |v85|, v149                        // 00000000814C: D1D30395 0656AB54
	v_max3_f32 v149, |v86|, |v87|, v149                        // 000000008154: D1D30395 0656AF56
	v_max3_f32 v149, |v88|, |v89|, v149                        // 00000000815C: D1D30395 0656B358
	v_max3_f32 v149, |v90|, |v91|, v149                        // 000000008164: D1D30395 0656B75A
	ds_write_b64 v214, v[148:149] offset:2304                  // 00000000816C: D89A0900 000094D6
	buffer_load_dword v129, v206, s[28:31], 0 offen            // 000000008174: E0501000 800781CE
	v_sub_f32_e32 v140, v136, v138                             // 00000000817C: 05191588
	v_cmp_eq_u32_e64 s[92:93], v195, v136                      // 000000008180: D0CA005C 000311C3
	s_nop 0                                                    // 000000008188: BF800000
	v_cndmask_b32_e64 v140, v140, 0, s[92:93]                  // 00000000818C: D100008C 0171018C
	v_mov_b32_e32 v136, v138                                   // 000000008194: 7F10038A
	v_mul_f32_e32 v140, s51, v140                              // 000000008198: 0B191833
	v_exp_f32_e32 v140, v140                                   // 00000000819C: 7F18418C
	v_sub_f32_e32 v142, v137, v139                             // 0000000081A0: 051D1789
	v_cmp_eq_u32_e64 s[92:93], v195, v137                      // 0000000081A4: D0CA005C 000313C3
	s_nop 0                                                    // 0000000081AC: BF800000
	v_cndmask_b32_e64 v142, v142, 0, s[92:93]                  // 0000000081B0: D100008E 0171018E
	v_mov_b32_e32 v137, v139                                   // 0000000081B8: 7F12038B
	v_mul_f32_e32 v142, s51, v142                              // 0000000081BC: 0B1D1C33
	v_exp_f32_e32 v142, v142                                   // 0000000081C0: 7F1C418E
	v_mov_b32_e32 v141, v140                                   // 0000000081C4: 7F1A038C
	v_mov_b32_e32 v143, v142                                   // 0000000081C8: 7F1E038E
	buffer_load_dword v131, v207, s[32:35], 0 offen            // 0000000081CC: E0501000 800883CF
	s_waitcnt lgkmcnt(0)                                       // 0000000081D4: BF8CC07F
	s_barrier                                                  // 0000000081D8: BF8A0000
	v_mul_f32_e32 v144, v140, v144                             // 0000000081DC: 0B21218C
	v_add_f32_e32 v144, v28, v144                              // 0000000081E0: 0321211C
	v_add_f32_e32 v144, v29, v144                              // 0000000081E4: 0321211D
	v_add_f32_e32 v144, v30, v144                              // 0000000081E8: 0321211E
	v_add_f32_e32 v144, v31, v144                              // 0000000081EC: 0321211F
	v_add_f32_e32 v144, v32, v144                              // 0000000081F0: 03212120
	v_add_f32_e32 v144, v33, v144                              // 0000000081F4: 03212121
	v_add_f32_e32 v144, v34, v144                              // 0000000081F8: 03212122
	v_add_f32_e32 v144, v35, v144                              // 0000000081FC: 03212123
	v_add_f32_e32 v144, v36, v144                              // 000000008200: 03212124
	v_add_f32_e32 v144, v37, v144                              // 000000008204: 03212125
	;; [unrolled: 1-line block ×3, first 2 shown]
	v_add_f32_e32 v144, v39, v144                              // 00000000820C: 03212127
	v_add_f32_e32 v144, v40, v144                              // 000000008210: 03212128
	v_add_f32_e32 v144, v41, v144                              // 000000008214: 03212129
	v_add_f32_e32 v144, v42, v144                              // 000000008218: 0321212A
	v_add_f32_e32 v144, v43, v144                              // 00000000821C: 0321212B
	v_mul_f32_e32 v145, v142, v145                             // 000000008220: 0B23238E
	v_add_f32_e32 v145, v44, v145                              // 000000008224: 0323232C
	v_add_f32_e32 v145, v45, v145                              // 000000008228: 0323232D
	v_add_f32_e32 v145, v46, v145                              // 00000000822C: 0323232E
	v_add_f32_e32 v145, v47, v145                              // 000000008230: 0323232F
	v_add_f32_e32 v145, v48, v145                              // 000000008234: 03232330
	v_add_f32_e32 v145, v49, v145                              // 000000008238: 03232331
	v_add_f32_e32 v145, v50, v145                              // 00000000823C: 03232332
	v_add_f32_e32 v145, v51, v145                              // 000000008240: 03232333
	v_add_f32_e32 v145, v52, v145                              // 000000008244: 03232334
	;; [unrolled: 1-line block ×3, first 2 shown]
	v_add_f32_e32 v145, v54, v145                              // 00000000824C: 03232336
	v_add_f32_e32 v145, v55, v145                              // 000000008250: 03232337
	v_add_f32_e32 v145, v56, v145                              // 000000008254: 03232338
	v_add_f32_e32 v145, v57, v145                              // 000000008258: 03232339
	v_add_f32_e32 v145, v58, v145                              // 00000000825C: 0323233A
	v_add_f32_e32 v145, v59, v145                              // 000000008260: 0323233B
	ds_read_b64 v[152:153], v215 offset:2304                   // 000000008264: D8EC0900 980000D7
	ds_read_b64 v[154:155], v215 offset:2432                   // 00000000826C: D8EC0980 9A0000D7
	ds_read_b64 v[156:157], v215 offset:2560                   // 000000008274: D8EC0A00 9C0000D7
	ds_read_b64 v[158:159], v215 offset:2688                   // 00000000827C: D8EC0A80 9E0000D7
	ds_read_b64 v[160:161], v215 offset:2816                   // 000000008284: D8EC0B00 A00000D7
	ds_read_b64 v[162:163], v215 offset:2944                   // 00000000828C: D8EC0B80 A20000D7
	ds_read_b64 v[164:165], v215 offset:3072                   // 000000008294: D8EC0C00 A40000D7
	ds_read_b64 v[166:167], v215 offset:3200                   // 00000000829C: D8EC0C80 A60000D7
	ds_read_b64 v[168:169], v215 offset:3328                   // 0000000082A4: D8EC0D00 A80000D7
	ds_read_b64 v[170:171], v215 offset:3456                   // 0000000082AC: D8EC0D80 AA0000D7
	ds_read_b64 v[172:173], v215 offset:3584                   // 0000000082B4: D8EC0E00 AC0000D7
	ds_read_b64 v[174:175], v215 offset:3712                   // 0000000082BC: D8EC0E80 AE0000D7
	ds_read_b64 v[176:177], v215 offset:3840                   // 0000000082C4: D8EC0F00 B00000D7
	ds_read_b64 v[178:179], v215 offset:3968                   // 0000000082CC: D8EC0F80 B20000D7
	ds_read_b64 v[180:181], v215 offset:4096                   // 0000000082D4: D8EC1000 B40000D7
	ds_read_b64 v[182:183], v215 offset:4224                   // 0000000082DC: D8EC1080 B60000D7
	s_waitcnt lgkmcnt(0)                                       // 0000000082E4: BF8CC07F
	v_max3_f32 v148, v152, v154, v148                          // 0000000082E8: D1D30094 06533598
	v_max3_f32 v149, v153, v155, v149                          // 0000000082F0: D1D30095 06573799
	v_max3_f32 v148, v156, v158, v148                          // 0000000082F8: D1D30094 06533D9C
	v_max3_f32 v149, v157, v159, v149                          // 000000008300: D1D30095 06573F9D
	v_max3_f32 v148, v160, v162, v148                          // 000000008308: D1D30094 065345A0
	v_max3_f32 v149, v161, v163, v149                          // 000000008310: D1D30095 065747A1
	v_max3_f32 v148, v164, v166, v148                          // 000000008318: D1D30094 06534DA4
	v_max3_f32 v149, v165, v167, v149                          // 000000008320: D1D30095 06574FA5
	v_max3_f32 v148, v168, v170, v148                          // 000000008328: D1D30094 065355A8
	v_max3_f32 v149, v169, v171, v149                          // 000000008330: D1D30095 065757A9
	v_max3_f32 v148, v172, v174, v148                          // 000000008338: D1D30094 06535DAC
	v_max3_f32 v149, v173, v175, v149                          // 000000008340: D1D30095 06575FAD
	v_max3_f32 v148, v176, v178, v148                          // 000000008348: D1D30094 065365B0
	v_max3_f32 v149, v177, v179, v149                          // 000000008350: D1D30095 065767B1
	v_max3_f32 v148, v180, v182, v148                          // 000000008358: D1D30094 06536DB4
	v_max3_f32 v149, v181, v183, v149                          // 000000008360: D1D30095 06576FB5
	v_rcp_f32_e32 v148, v148                                   // 000000008368: 7F284594
	v_rcp_f32_e32 v149, v149                                   // 00000000836C: 7F2A4595
	v_mul_f32_e32 v148, 0x43700000, v148                       // 000000008370: 0B2928FF 43700000
	v_mul_f32_e32 v149, 0x43700000, v149                       // 000000008378: 0B2B2AFF 43700000
	v_mov_b32_e32 v150, v149                                   // 000000008380: 7F2C0395
	v_mov_b32_e32 v151, v149                                   // 000000008384: 7F2E0395
	v_mov_b32_e32 v149, v148                                   // 000000008388: 7F2A0394
	v_pk_mul_f32 v[28:29], v[148:149], v[60:61]                // 00000000838C: D3B1401C 18027994
	v_pk_mul_f32 v[30:31], v[148:149], v[62:63]                // 000000008394: D3B1401E 18027D94
	v_pk_mul_f32 v[32:33], v[148:149], v[64:65]                // 00000000839C: D3B14020 18028194
	v_pk_mul_f32 v[34:35], v[148:149], v[66:67]                // 0000000083A4: D3B14022 18028594
	v_pk_mul_f32 v[36:37], v[148:149], v[68:69]                // 0000000083AC: D3B14024 18028994
	v_pk_mul_f32 v[38:39], v[148:149], v[70:71]                // 0000000083B4: D3B14026 18028D94
	v_pk_mul_f32 v[40:41], v[148:149], v[72:73]                // 0000000083BC: D3B14028 18029194
	v_pk_mul_f32 v[42:43], v[148:149], v[74:75]                // 0000000083C4: D3B1402A 18029594
	v_pk_mul_f32 v[44:45], v[150:151], v[76:77]                // 0000000083CC: D3B1402C 18029996
	v_pk_mul_f32 v[46:47], v[150:151], v[78:79]                // 0000000083D4: D3B1402E 18029D96
	v_pk_mul_f32 v[48:49], v[150:151], v[80:81]                // 0000000083DC: D3B14030 1802A196
	v_pk_mul_f32 v[50:51], v[150:151], v[82:83]                // 0000000083E4: D3B14032 1802A596
	v_pk_mul_f32 v[52:53], v[150:151], v[84:85]                // 0000000083EC: D3B14034 1802A996
	v_pk_mul_f32 v[54:55], v[150:151], v[86:87]                // 0000000083F4: D3B14036 1802AD96
	v_pk_mul_f32 v[56:57], v[150:151], v[88:89]                // 0000000083FC: D3B14038 1802B196
	v_pk_mul_f32 v[58:59], v[150:151], v[90:91]                // 000000008404: D3B1403A 1802B596
	v_cvt_pk_fp8_f32 v28, v28, v29                             // 00000000840C: D2A2001C 00023B1C
	v_cvt_pk_fp8_f32 v28, v30, v31 op_sel:[0,0,1]              // 000000008414: D2A2401C 00023F1E
	v_cvt_pk_fp8_f32 v29, v32, v33                             // 00000000841C: D2A2001D 00024320
	v_cvt_pk_fp8_f32 v29, v34, v35 op_sel:[0,0,1]              // 000000008424: D2A2401D 00024722
	v_cvt_pk_fp8_f32 v30, v36, v37                             // 00000000842C: D2A2001E 00024B24
	v_cvt_pk_fp8_f32 v30, v38, v39 op_sel:[0,0,1]              // 000000008434: D2A2401E 00024F26
	v_cvt_pk_fp8_f32 v31, v40, v41                             // 00000000843C: D2A2001F 00025328
	v_cvt_pk_fp8_f32 v31, v42, v43 op_sel:[0,0,1]              // 000000008444: D2A2401F 0002572A
	v_cvt_pk_fp8_f32 v32, v44, v45                             // 00000000844C: D2A20020 00025B2C
	v_cvt_pk_fp8_f32 v32, v46, v47 op_sel:[0,0,1]              // 000000008454: D2A24020 00025F2E
	v_cvt_pk_fp8_f32 v33, v48, v49                             // 00000000845C: D2A20021 00026330
	v_cvt_pk_fp8_f32 v33, v50, v51 op_sel:[0,0,1]              // 000000008464: D2A24021 00026732
	v_cvt_pk_fp8_f32 v34, v52, v53                             // 00000000846C: D2A20022 00026B34
	v_cvt_pk_fp8_f32 v34, v54, v55 op_sel:[0,0,1]              // 000000008474: D2A24022 00026F36
	v_cvt_pk_fp8_f32 v35, v56, v57                             // 00000000847C: D2A20023 00027338
	v_cvt_pk_fp8_f32 v35, v58, v59 op_sel:[0,0,1]              // 000000008484: D2A24023 0002773A
	ds_write_b32 v216, v28 offset:4608                         // 00000000848C: D81A1200 00001CD8
	ds_write_b32 v216, v29 offset:5632                         // 000000008494: D81A1600 00001DD8
	ds_write_b32 v216, v30 offset:6656                         // 00000000849C: D81A1A00 00001ED8
	ds_write_b32 v216, v31 offset:7680                         // 0000000084A4: D81A1E00 00001FD8
	ds_write_b32 v216, v32 offset:8704                         // 0000000084AC: D81A2200 000020D8
	ds_write_b32 v216, v33 offset:9728                         // 0000000084B4: D81A2600 000021D8
	ds_write_b32 v216, v34 offset:10752                        // 0000000084BC: D81A2A00 000022D8
	ds_write_b32 v216, v35 offset:11776                        // 0000000084C4: D81A2E00 000023D8
	v_rcp_f32_e32 v132, v148                                   // 0000000084CC: 7F084594
	v_rcp_f32_e32 v134, v150                                   // 0000000084D0: 7F0C4596
	v_mov_b32_e32 v133, v132                                   // 0000000084D4: 7F0A0384
	v_mov_b32_e32 v135, v134                                   // 0000000084D8: 7F0E0386
	v_pk_add_f32 v[108:109], v[108:109], v[92:93]              // 0000000084DC: D3B2406C 1802B96C
	v_pk_add_f32 v[110:111], v[110:111], v[94:95]              // 0000000084E4: D3B2406E 1802BD6E
	v_pk_add_f32 v[112:113], v[112:113], v[96:97]              // 0000000084EC: D3B24070 1802C170
	v_pk_add_f32 v[114:115], v[114:115], v[98:99]              // 0000000084F4: D3B24072 1802C572
	v_pk_add_f32 v[116:117], v[116:117], v[100:101]            // 0000000084FC: D3B24074 1802C974
	v_pk_add_f32 v[118:119], v[118:119], v[102:103]            // 000000008504: D3B24076 1802CD76
	v_pk_add_f32 v[120:121], v[120:121], v[104:105]            // 00000000850C: D3B24078 1802D178
	v_pk_add_f32 v[122:123], v[122:123], v[106:107]            // 000000008514: D3B2407A 1802D57A
	s_waitcnt lgkmcnt(0)                                       // 00000000851C: BF8CC07F
	s_barrier                                                  // 000000008520: BF8A0000
	ds_read_b128 v[28:31], v217 offset:4608                    // 000000008524: D9FE1200 1C0000D9
	ds_read_b128 v[32:35], v217 offset:5632                    // 00000000852C: D9FE1600 200000D9
	ds_read_b128 v[36:39], v217 offset:6656                    // 000000008534: D9FE1A00 240000D9
	ds_read_b128 v[40:43], v217 offset:7680                    // 00000000853C: D9FE1E00 280000D9
	ds_read_b128 v[44:47], v217 offset:8704                    // 000000008544: D9FE2200 2C0000D9
	ds_read_b128 v[48:51], v217 offset:9728                    // 00000000854C: D9FE2600 300000D9
	ds_read_b128 v[52:55], v217 offset:10752                   // 000000008554: D9FE2A00 340000D9
	ds_read_b128 v[56:59], v217 offset:11776                   // 00000000855C: D9FE2E00 380000D9
	s_waitcnt vmcnt(10)                                        // 000000008564: BF8C0F7A
	s_waitcnt lgkmcnt(7)                                       // 000000008568: BF8CC77F
	v_mfma_f32_16x16x32_fp8_fp8 v[92:95], a[64:65], v[28:29], 0// 00000000856C: D3F3005C 0A023940
	v_mfma_f32_16x16x32_fp8_fp8 v[96:99], a[80:81], v[28:29], 0// 000000008574: D3F30060 0A023950
	v_mfma_f32_16x16x32_fp8_fp8 v[92:95], a[66:67], v[30:31], v[92:95]// 00000000857C: D3F3005C 0D723D42
	buffer_load_dwordx4 a[96:99], v202, s[16:19], 0 offen      // 000000008584: E05C1000 808460CA
	v_mfma_f32_16x16x32_fp8_fp8 v[96:99], a[82:83], v[30:31], v[96:99]// 00000000858C: D3F30060 0D823D52
	s_waitcnt lgkmcnt(6)                                       // 000000008594: BF8CC67F
	v_mfma_f32_16x16x32_fp8_fp8 v[92:95], a[68:69], v[32:33], v[92:95]// 000000008598: D3F3005C 0D724144
	v_mfma_f32_16x16x32_fp8_fp8 v[96:99], a[84:85], v[32:33], v[96:99]// 0000000085A0: D3F30060 0D824154
	v_mfma_f32_16x16x32_fp8_fp8 v[92:95], a[70:71], v[34:35], v[92:95]// 0000000085A8: D3F3005C 0D724546
	buffer_load_dwordx4 a[100:103], v203, s[16:19], 0 offen    // 0000000085B0: E05C1000 808464CB
	v_mfma_f32_16x16x32_fp8_fp8 v[96:99], a[86:87], v[34:35], v[96:99]// 0000000085B8: D3F30060 0D824556
	s_waitcnt lgkmcnt(5)                                       // 0000000085C0: BF8CC57F
	v_mfma_f32_16x16x32_fp8_fp8 v[92:95], a[72:73], v[36:37], v[92:95]// 0000000085C4: D3F3005C 0D724948
	v_mfma_f32_16x16x32_fp8_fp8 v[96:99], a[88:89], v[36:37], v[96:99]// 0000000085CC: D3F30060 0D824958
	v_mfma_f32_16x16x32_fp8_fp8 v[92:95], a[74:75], v[38:39], v[92:95]// 0000000085D4: D3F3005C 0D724D4A
	buffer_load_dwordx4 a[104:107], v204, s[16:19], 0 offen    // 0000000085DC: E05C1000 808468CC
	v_mfma_f32_16x16x32_fp8_fp8 v[96:99], a[90:91], v[38:39], v[96:99]// 0000000085E4: D3F30060 0D824D5A
	s_waitcnt lgkmcnt(4)                                       // 0000000085EC: BF8CC47F
	v_mfma_f32_16x16x32_fp8_fp8 v[92:95], a[76:77], v[40:41], v[92:95]// 0000000085F0: D3F3005C 0D72514C
	v_mfma_f32_16x16x32_fp8_fp8 v[96:99], a[92:93], v[40:41], v[96:99]// 0000000085F8: D3F30060 0D82515C
	v_mfma_f32_16x16x32_fp8_fp8 v[92:95], a[78:79], v[42:43], v[92:95]// 000000008600: D3F3005C 0D72554E
	buffer_load_dwordx4 a[108:111], v205, s[16:19], 0 offen    // 000000008608: E05C1000 80846CCD
	v_mfma_f32_16x16x32_fp8_fp8 v[96:99], a[94:95], v[42:43], v[96:99]// 000000008610: D3F30060 0D82555E
	s_waitcnt lgkmcnt(3)                                       // 000000008618: BF8CC37F
	v_mfma_f32_16x16x32_fp8_fp8 v[100:103], a[64:65], v[44:45], 0// 00000000861C: D3F30064 0A025940
	v_mfma_f32_16x16x32_fp8_fp8 v[104:107], a[80:81], v[44:45], 0// 000000008624: D3F30068 0A025950
	v_mfma_f32_16x16x32_fp8_fp8 v[100:103], a[66:67], v[46:47], v[100:103]// 00000000862C: D3F30064 0D925D42
	buffer_load_dwordx4 a[112:115], v202, s[16:19], 0 offen offset:1024// 000000008634: E05C1400 808470CA
	v_mfma_f32_16x16x32_fp8_fp8 v[104:107], a[82:83], v[46:47], v[104:107]// 00000000863C: D3F30068 0DA25D52
	s_waitcnt lgkmcnt(2)                                       // 000000008644: BF8CC27F
	v_mfma_f32_16x16x32_fp8_fp8 v[100:103], a[68:69], v[48:49], v[100:103]// 000000008648: D3F30064 0D926144
	v_mfma_f32_16x16x32_fp8_fp8 v[104:107], a[84:85], v[48:49], v[104:107]// 000000008650: D3F30068 0DA26154
	v_mfma_f32_16x16x32_fp8_fp8 v[100:103], a[70:71], v[50:51], v[100:103]// 000000008658: D3F30064 0D926546
	buffer_load_dwordx4 a[116:119], v203, s[16:19], 0 offen offset:1024// 000000008660: E05C1400 808474CB
	v_mfma_f32_16x16x32_fp8_fp8 v[104:107], a[86:87], v[50:51], v[104:107]// 000000008668: D3F30068 0DA26556
	s_waitcnt lgkmcnt(1)                                       // 000000008670: BF8CC17F
	v_mfma_f32_16x16x32_fp8_fp8 v[100:103], a[72:73], v[52:53], v[100:103]// 000000008674: D3F30064 0D926948
	v_mfma_f32_16x16x32_fp8_fp8 v[104:107], a[88:89], v[52:53], v[104:107]// 00000000867C: D3F30068 0DA26958
	v_mfma_f32_16x16x32_fp8_fp8 v[100:103], a[74:75], v[54:55], v[100:103]// 000000008684: D3F30064 0D926D4A
	buffer_load_dwordx4 a[120:123], v204, s[16:19], 0 offen offset:1024// 00000000868C: E05C1400 808478CC
	v_mfma_f32_16x16x32_fp8_fp8 v[104:107], a[90:91], v[54:55], v[104:107]// 000000008694: D3F30068 0DA26D5A
	s_waitcnt lgkmcnt(0)                                       // 00000000869C: BF8CC07F
	v_mfma_f32_16x16x32_fp8_fp8 v[100:103], a[76:77], v[56:57], v[100:103]// 0000000086A0: D3F30064 0D92714C
	v_mfma_f32_16x16x32_fp8_fp8 v[104:107], a[92:93], v[56:57], v[104:107]// 0000000086A8: D3F30068 0DA2715C
	v_mfma_f32_16x16x32_fp8_fp8 v[100:103], a[78:79], v[58:59], v[100:103]// 0000000086B0: D3F30064 0D92754E
	buffer_load_dwordx4 a[124:127], v205, s[16:19], 0 offen offset:1024// 0000000086B8: E05C1400 80847CCD
	v_mfma_f32_16x16x32_fp8_fp8 v[104:107], a[94:95], v[58:59], v[104:107]// 0000000086C0: D3F30068 0DA2755E
	s_addk_i32 s49, 0x100                                      // 0000000086C8: B7310100
	s_cmp_lt_i32 s49, s50                                      // 0000000086CC: BF043231
	s_cbranch_scc0 label_2934                                  // 0000000086D0: BF840FBF
	s_waitcnt vmcnt(10)                                        // 0000000086D4: BF8C0F7A
	v_mfma_f32_16x16x32_fp8_fp8 v[28:31], a[32:33], v[12:13], 0// 0000000086D8: D3F3001C 0A021920
	s_add_u32 s12, s84, s64                                    // 0000000086E0: 800C4054
	s_addc_u32 s13, s85, 0                                     // 0000000086E4: 820D8055
	v_mfma_f32_16x16x32_fp8_fp8 v[28:31], a[34:35], v[14:15], v[28:31]// 0000000086E8: D3F3001C 0C721D22
	s_add_u32 s16, s86, s65                                    // 0000000086F0: 80104156
	s_addc_u32 s17, s87, 0                                     // 0000000086F4: 82118057
	v_mfma_f32_16x16x32_fp8_fp8 v[28:31], a[36:37], v[16:17], v[28:31]// 0000000086F8: D3F3001C 0C722124
	buffer_load_dwordx4 a[0:3], v200, s[12:15], 0 offen        // 000000008700: E05C1000 808300C8
	v_mfma_f32_16x16x32_fp8_fp8 v[28:31], a[38:39], v[18:19], v[28:31]// 000000008708: D3F3001C 0C722526
	s_add_u32 s28, s88, s66                                    // 000000008710: 801C4258
	s_addc_u32 s29, s89, 0                                     // 000000008714: 821D8059
	v_mfma_f32_16x16x32_fp8_fp8 v[32:35], a[40:41], v[12:13], 0// 000000008718: D3F30020 0A021928
	s_add_u32 s32, s90, s66                                    // 000000008720: 8020425A
	s_addc_u32 s33, s91, 0                                     // 000000008724: 8221805B
	v_mfma_f32_16x16x32_fp8_fp8 v[32:35], a[42:43], v[14:15], v[32:35]// 000000008728: D3F30020 0C821D2A
	s_add_u32 s64, s64, 0x1000                                 // 000000008730: 8040FF40 00001000
	s_add_u32 s65, s65, 0x8000                                 // 000000008738: 8041FF41 00008000
	v_mfma_f32_16x16x32_fp8_fp8 v[32:35], a[44:45], v[16:17], v[32:35]// 000000008740: D3F30020 0C82212C
	buffer_load_dwordx4 a[4:7], v201, s[12:15], 0 offen        // 000000008748: E05C1000 808304C9
	v_mfma_f32_16x16x32_fp8_fp8 v[32:35], a[46:47], v[18:19], v[32:35]// 000000008750: D3F30020 0C82252E
	s_add_u32 s66, s66, 0x400                                  // 000000008758: 8042FF42 00000400
	v_mfma_f32_16x16x32_fp8_fp8 v[36:39], a[48:49], v[12:13], 0// 000000008760: D3F30024 0A021930
	v_mfma_f32_16x16x32_fp8_fp8 v[36:39], a[50:51], v[14:15], v[36:39]// 000000008768: D3F30024 0C921D32
	v_mfma_f32_16x16x32_fp8_fp8 v[36:39], a[52:53], v[16:17], v[36:39]// 000000008770: D3F30024 0C922134
	buffer_load_dwordx4 a[8:11], v200, s[12:15], 0 offen offset:1024// 000000008778: E05C1400 808308C8
	v_mfma_f32_16x16x32_fp8_fp8 v[36:39], a[54:55], v[18:19], v[36:39]// 000000008780: D3F30024 0C922536
	v_mfma_f32_16x16x32_fp8_fp8 v[40:43], a[56:57], v[12:13], 0// 000000008788: D3F30028 0A021938
	v_mfma_f32_16x16x32_fp8_fp8 v[40:43], a[58:59], v[14:15], v[40:43]// 000000008790: D3F30028 0CA21D3A
	v_mfma_f32_16x16x32_fp8_fp8 v[40:43], a[60:61], v[16:17], v[40:43]// 000000008798: D3F30028 0CA2213C
	buffer_load_dwordx4 a[12:15], v201, s[12:15], 0 offen offset:1024// 0000000087A0: E05C1400 80830CC9
	v_mfma_f32_16x16x32_fp8_fp8 v[40:43], a[62:63], v[18:19], v[40:43]// 0000000087A8: D3F30028 0CA2253E
	v_mfma_f32_16x16x32_fp8_fp8 v[44:47], a[32:33], v[20:21], 0// 0000000087B0: D3F3002C 0A022920
	v_mfma_f32_16x16x32_fp8_fp8 v[44:47], a[34:35], v[22:23], v[44:47]// 0000000087B8: D3F3002C 0CB22D22
	v_mfma_f32_16x16x32_fp8_fp8 v[44:47], a[36:37], v[24:25], v[44:47]// 0000000087C0: D3F3002C 0CB23124
	buffer_load_dwordx4 a[16:19], v200, s[12:15], 0 offen offset:2048// 0000000087C8: E05C1800 808310C8
	v_mfma_f32_16x16x32_fp8_fp8 v[44:47], a[38:39], v[26:27], v[44:47]// 0000000087D0: D3F3002C 0CB23526
	v_mfma_f32_16x16x32_fp8_fp8 v[48:51], a[40:41], v[20:21], 0// 0000000087D8: D3F30030 0A022928
	v_mfma_f32_16x16x32_fp8_fp8 v[48:51], a[42:43], v[22:23], v[48:51]// 0000000087E0: D3F30030 0CC22D2A
	v_mfma_f32_16x16x32_fp8_fp8 v[48:51], a[44:45], v[24:25], v[48:51]// 0000000087E8: D3F30030 0CC2312C
	buffer_load_dwordx4 a[20:23], v201, s[12:15], 0 offen offset:2048// 0000000087F0: E05C1800 808314C9
	v_mfma_f32_16x16x32_fp8_fp8 v[48:51], a[46:47], v[26:27], v[48:51]// 0000000087F8: D3F30030 0CC2352E
	v_mfma_f32_16x16x32_fp8_fp8 v[52:55], a[48:49], v[20:21], 0// 000000008800: D3F30034 0A022930
	v_mfma_f32_16x16x32_fp8_fp8 v[52:55], a[50:51], v[22:23], v[52:55]// 000000008808: D3F30034 0CD22D32
	v_mfma_f32_16x16x32_fp8_fp8 v[52:55], a[52:53], v[24:25], v[52:55]// 000000008810: D3F30034 0CD23134
	buffer_load_dwordx4 a[24:27], v200, s[12:15], 0 offen offset:3072// 000000008818: E05C1C00 808318C8
	v_mfma_f32_16x16x32_fp8_fp8 v[52:55], a[54:55], v[26:27], v[52:55]// 000000008820: D3F30034 0CD23536
	v_mfma_f32_16x16x32_fp8_fp8 v[56:59], a[56:57], v[20:21], 0// 000000008828: D3F30038 0A022938
	v_mfma_f32_16x16x32_fp8_fp8 v[56:59], a[58:59], v[22:23], v[56:59]// 000000008830: D3F30038 0CE22D3A
	v_mfma_f32_16x16x32_fp8_fp8 v[56:59], a[60:61], v[24:25], v[56:59]// 000000008838: D3F30038 0CE2313C
	buffer_load_dwordx4 a[28:31], v201, s[12:15], 0 offen offset:3072// 000000008840: E05C1C00 80831CC9
	v_mfma_f32_16x16x32_fp8_fp8 v[56:59], a[62:63], v[26:27], v[56:59]// 000000008848: D3F30038 0CE2353E
	s_waitcnt vmcnt(16)                                        // 000000008850: BF8C4F70
	v_pk_mul_f32 v[28:29], v[124:125], v[28:29]                // 000000008854: D3B1401C 1802397C
	v_pk_mul_f32 v[30:31], v[124:125], v[30:31]                // 00000000885C: D3B1401E 18023D7C
	v_mul_f32_dpp v28, v129, v28 row_newbcast:0 row_mask:0xf bank_mask:0xf// 000000008864: 0A3838FA FF015081
	v_mul_f32_dpp v29, v129, v29 row_newbcast:1 row_mask:0xf bank_mask:0xf// 00000000886C: 0A3A3AFA FF015181
	v_mul_f32_dpp v30, v129, v30 row_newbcast:2 row_mask:0xf bank_mask:0xf// 000000008874: 0A3C3CFA FF015281
	v_mul_f32_dpp v31, v129, v31 row_newbcast:3 row_mask:0xf bank_mask:0xf// 00000000887C: 0A3E3EFA FF015381
	v_pk_mul_f32 v[32:33], v[124:125], v[32:33]                // 000000008884: D3B14020 1802417C
	v_pk_mul_f32 v[34:35], v[124:125], v[34:35]                // 00000000888C: D3B14022 1802457C
	v_mul_f32_dpp v32, v129, v32 row_newbcast:4 row_mask:0xf bank_mask:0xf// 000000008894: 0A4040FA FF015481
	v_mul_f32_dpp v33, v129, v33 row_newbcast:5 row_mask:0xf bank_mask:0xf// 00000000889C: 0A4242FA FF015581
	v_mul_f32_dpp v34, v129, v34 row_newbcast:6 row_mask:0xf bank_mask:0xf// 0000000088A4: 0A4444FA FF015681
	v_mul_f32_dpp v35, v129, v35 row_newbcast:7 row_mask:0xf bank_mask:0xf// 0000000088AC: 0A4646FA FF015781
	v_pk_mul_f32 v[36:37], v[124:125], v[36:37]                // 0000000088B4: D3B14024 1802497C
	v_pk_mul_f32 v[38:39], v[124:125], v[38:39]                // 0000000088BC: D3B14026 18024D7C
	v_mul_f32_dpp v36, v129, v36 row_newbcast:8 row_mask:0xf bank_mask:0xf// 0000000088C4: 0A4848FA FF015881
	v_mul_f32_dpp v37, v129, v37 row_newbcast:9 row_mask:0xf bank_mask:0xf// 0000000088CC: 0A4A4AFA FF015981
	v_mul_f32_dpp v38, v129, v38 row_newbcast:10 row_mask:0xf bank_mask:0xf// 0000000088D4: 0A4C4CFA FF015A81
	v_mul_f32_dpp v39, v129, v39 row_newbcast:11 row_mask:0xf bank_mask:0xf// 0000000088DC: 0A4E4EFA FF015B81
	v_pk_mul_f32 v[40:41], v[124:125], v[40:41]                // 0000000088E4: D3B14028 1802517C
	v_pk_mul_f32 v[42:43], v[124:125], v[42:43]                // 0000000088EC: D3B1402A 1802557C
	v_mul_f32_dpp v40, v129, v40 row_newbcast:12 row_mask:0xf bank_mask:0xf// 0000000088F4: 0A5050FA FF015C81
	v_mul_f32_dpp v41, v129, v41 row_newbcast:13 row_mask:0xf bank_mask:0xf// 0000000088FC: 0A5252FA FF015D81
	v_mul_f32_dpp v42, v129, v42 row_newbcast:14 row_mask:0xf bank_mask:0xf// 000000008904: 0A5454FA FF015E81
	v_mul_f32_dpp v43, v129, v43 row_newbcast:15 row_mask:0xf bank_mask:0xf// 00000000890C: 0A5656FA FF015F81
	v_pk_mul_f32 v[44:45], v[126:127], v[44:45]                // 000000008914: D3B1402C 1802597E
	v_pk_mul_f32 v[46:47], v[126:127], v[46:47]                // 00000000891C: D3B1402E 18025D7E
	v_mul_f32_dpp v44, v129, v44 row_newbcast:0 row_mask:0xf bank_mask:0xf// 000000008924: 0A5858FA FF015081
	v_mul_f32_dpp v45, v129, v45 row_newbcast:1 row_mask:0xf bank_mask:0xf// 00000000892C: 0A5A5AFA FF015181
	v_mul_f32_dpp v46, v129, v46 row_newbcast:2 row_mask:0xf bank_mask:0xf// 000000008934: 0A5C5CFA FF015281
	v_mul_f32_dpp v47, v129, v47 row_newbcast:3 row_mask:0xf bank_mask:0xf// 00000000893C: 0A5E5EFA FF015381
	v_pk_mul_f32 v[48:49], v[126:127], v[48:49]                // 000000008944: D3B14030 1802617E
	v_pk_mul_f32 v[50:51], v[126:127], v[50:51]                // 00000000894C: D3B14032 1802657E
	v_mul_f32_dpp v48, v129, v48 row_newbcast:4 row_mask:0xf bank_mask:0xf// 000000008954: 0A6060FA FF015481
	v_mul_f32_dpp v49, v129, v49 row_newbcast:5 row_mask:0xf bank_mask:0xf// 00000000895C: 0A6262FA FF015581
	v_mul_f32_dpp v50, v129, v50 row_newbcast:6 row_mask:0xf bank_mask:0xf// 000000008964: 0A6464FA FF015681
	v_mul_f32_dpp v51, v129, v51 row_newbcast:7 row_mask:0xf bank_mask:0xf// 00000000896C: 0A6666FA FF015781
	v_pk_mul_f32 v[52:53], v[126:127], v[52:53]                // 000000008974: D3B14034 1802697E
	v_pk_mul_f32 v[54:55], v[126:127], v[54:55]                // 00000000897C: D3B14036 18026D7E
	v_mul_f32_dpp v52, v129, v52 row_newbcast:8 row_mask:0xf bank_mask:0xf// 000000008984: 0A6868FA FF015881
	v_mul_f32_dpp v53, v129, v53 row_newbcast:9 row_mask:0xf bank_mask:0xf// 00000000898C: 0A6A6AFA FF015981
	v_mul_f32_dpp v54, v129, v54 row_newbcast:10 row_mask:0xf bank_mask:0xf// 000000008994: 0A6C6CFA FF015A81
	v_mul_f32_dpp v55, v129, v55 row_newbcast:11 row_mask:0xf bank_mask:0xf// 00000000899C: 0A6E6EFA FF015B81
	v_pk_mul_f32 v[56:57], v[126:127], v[56:57]                // 0000000089A4: D3B14038 1802717E
	v_pk_mul_f32 v[58:59], v[126:127], v[58:59]                // 0000000089AC: D3B1403A 1802757E
	v_mul_f32_dpp v56, v129, v56 row_newbcast:12 row_mask:0xf bank_mask:0xf// 0000000089B4: 0A7070FA FF015C81
	v_mul_f32_dpp v57, v129, v57 row_newbcast:13 row_mask:0xf bank_mask:0xf// 0000000089BC: 0A7272FA FF015D81
	v_mul_f32_dpp v58, v129, v58 row_newbcast:14 row_mask:0xf bank_mask:0xf// 0000000089C4: 0A7474FA FF015E81
	v_mul_f32_dpp v59, v129, v59 row_newbcast:15 row_mask:0xf bank_mask:0xf// 0000000089CC: 0A7676FA FF015F81
	v_mov_b32_e32 v148, v28                                    // 0000000089D4: 7F28031C
	v_max3_f32 v148, v28, v29, v148                            // 0000000089D8: D1D30094 06523B1C
	v_max3_f32 v148, v30, v31, v148                            // 0000000089E0: D1D30094 06523F1E
	v_max3_f32 v148, v32, v33, v148                            // 0000000089E8: D1D30094 06524320
	v_max3_f32 v148, v34, v35, v148                            // 0000000089F0: D1D30094 06524722
	v_max3_f32 v148, v36, v37, v148                            // 0000000089F8: D1D30094 06524B24
	v_max3_f32 v148, v38, v39, v148                            // 000000008A00: D1D30094 06524F26
	v_max3_f32 v148, v40, v41, v148                            // 000000008A08: D1D30094 06525328
	v_max3_f32 v148, v42, v43, v148                            // 000000008A10: D1D30094 0652572A
	v_mov_b32_e32 v149, v44                                    // 000000008A18: 7F2A032C
	v_max3_f32 v149, v44, v45, v149                            // 000000008A1C: D1D30095 06565B2C
	v_max3_f32 v149, v46, v47, v149                            // 000000008A24: D1D30095 06565F2E
	v_max3_f32 v149, v48, v49, v149                            // 000000008A2C: D1D30095 06566330
	v_max3_f32 v149, v50, v51, v149                            // 000000008A34: D1D30095 06566732
	v_max3_f32 v149, v52, v53, v149                            // 000000008A3C: D1D30095 06566B34
	v_max3_f32 v149, v54, v55, v149                            // 000000008A44: D1D30095 06566F36
	v_max3_f32 v149, v56, v57, v149                            // 000000008A4C: D1D30095 06567338
	v_max3_f32 v149, v58, v59, v149                            // 000000008A54: D1D30095 0656773A
	ds_write_b64 v214, v[148:149]                              // 000000008A5C: D89A0000 000094D6
	v_pk_mul_f32 v[108:109], v[140:141], v[108:109]            // 000000008A64: D3B1406C 1802D98C
	v_pk_mul_f32 v[110:111], v[140:141], v[110:111]            // 000000008A6C: D3B1406E 1802DD8C
	v_pk_mul_f32 v[112:113], v[140:141], v[112:113]            // 000000008A74: D3B14070 1802E18C
	v_pk_mul_f32 v[114:115], v[140:141], v[114:115]            // 000000008A7C: D3B14072 1802E58C
	v_pk_mul_f32 v[116:117], v[142:143], v[116:117]            // 000000008A84: D3B14074 1802E98E
	v_pk_mul_f32 v[118:119], v[142:143], v[118:119]            // 000000008A8C: D3B14076 1802ED8E
	v_pk_mul_f32 v[120:121], v[142:143], v[120:121]            // 000000008A94: D3B14078 1802F18E
	v_pk_mul_f32 v[122:123], v[142:143], v[122:123]            // 000000008A9C: D3B1407A 1802F58E
	s_waitcnt lgkmcnt(0)                                       // 000000008AA4: BF8CC07F
	s_barrier                                                  // 000000008AA8: BF8A0000
	v_pk_mul_f32 v[92:93], v[132:133], v[92:93]                // 000000008AAC: D3B1405C 1802B984
	v_pk_mul_f32 v[94:95], v[132:133], v[94:95]                // 000000008AB4: D3B1405E 1802BD84
	v_pk_mul_f32 v[96:97], v[132:133], v[96:97]                // 000000008ABC: D3B14060 1802C184
	v_pk_mul_f32 v[98:99], v[132:133], v[98:99]                // 000000008AC4: D3B14062 1802C584
	v_pk_mul_f32 v[100:101], v[134:135], v[100:101]            // 000000008ACC: D3B14064 1802C986
	v_pk_mul_f32 v[102:103], v[134:135], v[102:103]            // 000000008AD4: D3B14066 1802CD86
	v_pk_mul_f32 v[104:105], v[134:135], v[104:105]            // 000000008ADC: D3B14068 1802D186
	v_pk_mul_f32 v[106:107], v[134:135], v[106:107]            // 000000008AE4: D3B1406A 1802D586
	ds_read_b64 v[152:153], v215                               // 000000008AEC: D8EC0000 980000D7
	ds_read_b64 v[154:155], v215 offset:128                    // 000000008AF4: D8EC0080 9A0000D7
	ds_read_b64 v[156:157], v215 offset:256                    // 000000008AFC: D8EC0100 9C0000D7
	ds_read_b64 v[158:159], v215 offset:384                    // 000000008B04: D8EC0180 9E0000D7
	ds_read_b64 v[160:161], v215 offset:512                    // 000000008B0C: D8EC0200 A00000D7
	ds_read_b64 v[162:163], v215 offset:640                    // 000000008B14: D8EC0280 A20000D7
	ds_read_b64 v[164:165], v215 offset:768                    // 000000008B1C: D8EC0300 A40000D7
	ds_read_b64 v[166:167], v215 offset:896                    // 000000008B24: D8EC0380 A60000D7
	ds_read_b64 v[168:169], v215 offset:1024                   // 000000008B2C: D8EC0400 A80000D7
	ds_read_b64 v[170:171], v215 offset:1152                   // 000000008B34: D8EC0480 AA0000D7
	ds_read_b64 v[172:173], v215 offset:1280                   // 000000008B3C: D8EC0500 AC0000D7
	ds_read_b64 v[174:175], v215 offset:1408                   // 000000008B44: D8EC0580 AE0000D7
	ds_read_b64 v[176:177], v215 offset:1536                   // 000000008B4C: D8EC0600 B00000D7
	ds_read_b64 v[178:179], v215 offset:1664                   // 000000008B54: D8EC0680 B20000D7
	ds_read_b64 v[180:181], v215 offset:1792                   // 000000008B5C: D8EC0700 B40000D7
	ds_read_b64 v[182:183], v215 offset:1920                   // 000000008B64: D8EC0780 B60000D7
	s_waitcnt lgkmcnt(0)                                       // 000000008B6C: BF8CC07F
	v_max3_f32 v148, v152, v154, v148                          // 000000008B70: D1D30094 06533598
	v_max3_f32 v149, v153, v155, v149                          // 000000008B78: D1D30095 06573799
	v_max3_f32 v148, v156, v158, v148                          // 000000008B80: D1D30094 06533D9C
	v_max3_f32 v149, v157, v159, v149                          // 000000008B88: D1D30095 06573F9D
	v_max3_f32 v148, v160, v162, v148                          // 000000008B90: D1D30094 065345A0
	v_max3_f32 v149, v161, v163, v149                          // 000000008B98: D1D30095 065747A1
	v_max3_f32 v148, v164, v166, v148                          // 000000008BA0: D1D30094 06534DA4
	v_max3_f32 v149, v165, v167, v149                          // 000000008BA8: D1D30095 06574FA5
	v_max3_f32 v148, v168, v170, v148                          // 000000008BB0: D1D30094 065355A8
	v_max3_f32 v149, v169, v171, v149                          // 000000008BB8: D1D30095 065757A9
	v_max3_f32 v148, v172, v174, v148                          // 000000008BC0: D1D30094 06535DAC
	v_max3_f32 v149, v173, v175, v149                          // 000000008BC8: D1D30095 06575FAD
	v_max3_f32 v148, v176, v178, v148                          // 000000008BD0: D1D30094 065365B0
	v_max3_f32 v149, v177, v179, v149                          // 000000008BD8: D1D30095 065767B1
	v_max3_f32 v148, v180, v182, v148                          // 000000008BE0: D1D30094 06536DB4
	v_max3_f32 v149, v181, v183, v149                          // 000000008BE8: D1D30095 06576FB5
	v_max_f32_e32 v138, v148, v136                             // 000000008BF0: 17151194
	v_mul_f32_e64 v184, -s51, v138                             // 000000008BF4: D10500B8 20031433
	v_mov_b32_e32 v185, v184                                   // 000000008BFC: 7F7203B8
	v_pk_fma_f32 v[28:29], v[28:29], s[68:69], v[184:185]      // 000000008C00: D3B0401C 1EE0891C
	v_pk_fma_f32 v[30:31], v[30:31], s[68:69], v[184:185]      // 000000008C08: D3B0401E 1EE0891E
	v_exp_f32_e32 v28, v28                                     // 000000008C10: 7E38411C
	v_exp_f32_e32 v29, v29                                     // 000000008C14: 7E3A411D
	v_exp_f32_e32 v30, v30                                     // 000000008C18: 7E3C411E
	v_exp_f32_e32 v31, v31                                     // 000000008C1C: 7E3E411F
	v_pk_fma_f32 v[32:33], v[32:33], s[68:69], v[184:185]      // 000000008C20: D3B04020 1EE08920
	v_pk_fma_f32 v[34:35], v[34:35], s[68:69], v[184:185]      // 000000008C28: D3B04022 1EE08922
	v_exp_f32_e32 v32, v32                                     // 000000008C30: 7E404120
	v_exp_f32_e32 v33, v33                                     // 000000008C34: 7E424121
	v_exp_f32_e32 v34, v34                                     // 000000008C38: 7E444122
	v_exp_f32_e32 v35, v35                                     // 000000008C3C: 7E464123
	v_pk_fma_f32 v[36:37], v[36:37], s[68:69], v[184:185]      // 000000008C40: D3B04024 1EE08924
	v_pk_fma_f32 v[38:39], v[38:39], s[68:69], v[184:185]      // 000000008C48: D3B04026 1EE08926
	v_exp_f32_e32 v36, v36                                     // 000000008C50: 7E484124
	v_exp_f32_e32 v37, v37                                     // 000000008C54: 7E4A4125
	v_exp_f32_e32 v38, v38                                     // 000000008C58: 7E4C4126
	v_exp_f32_e32 v39, v39                                     // 000000008C5C: 7E4E4127
	v_pk_fma_f32 v[40:41], v[40:41], s[68:69], v[184:185]      // 000000008C60: D3B04028 1EE08928
	v_pk_fma_f32 v[42:43], v[42:43], s[68:69], v[184:185]      // 000000008C68: D3B0402A 1EE0892A
	v_exp_f32_e32 v40, v40                                     // 000000008C70: 7E504128
	v_exp_f32_e32 v41, v41                                     // 000000008C74: 7E524129
	v_exp_f32_e32 v42, v42                                     // 000000008C78: 7E54412A
	v_exp_f32_e32 v43, v43                                     // 000000008C7C: 7E56412B
	v_max_f32_e32 v139, v149, v137                             // 000000008C80: 17171395
	v_mul_f32_e64 v184, -s51, v139                             // 000000008C84: D10500B8 20031633
	v_mov_b32_e32 v185, v184                                   // 000000008C8C: 7F7203B8
	v_pk_fma_f32 v[44:45], v[44:45], s[68:69], v[184:185]      // 000000008C90: D3B0402C 1EE0892C
	v_pk_fma_f32 v[46:47], v[46:47], s[68:69], v[184:185]      // 000000008C98: D3B0402E 1EE0892E
	v_exp_f32_e32 v44, v44                                     // 000000008CA0: 7E58412C
	v_exp_f32_e32 v45, v45                                     // 000000008CA4: 7E5A412D
	v_exp_f32_e32 v46, v46                                     // 000000008CA8: 7E5C412E
	v_exp_f32_e32 v47, v47                                     // 000000008CAC: 7E5E412F
	v_pk_fma_f32 v[48:49], v[48:49], s[68:69], v[184:185]      // 000000008CB0: D3B04030 1EE08930
	v_pk_fma_f32 v[50:51], v[50:51], s[68:69], v[184:185]      // 000000008CB8: D3B04032 1EE08932
	v_exp_f32_e32 v48, v48                                     // 000000008CC0: 7E604130
	v_exp_f32_e32 v49, v49                                     // 000000008CC4: 7E624131
	v_exp_f32_e32 v50, v50                                     // 000000008CC8: 7E644132
	v_exp_f32_e32 v51, v51                                     // 000000008CCC: 7E664133
	v_pk_fma_f32 v[52:53], v[52:53], s[68:69], v[184:185]      // 000000008CD0: D3B04034 1EE08934
	v_pk_fma_f32 v[54:55], v[54:55], s[68:69], v[184:185]      // 000000008CD8: D3B04036 1EE08936
	v_exp_f32_e32 v52, v52                                     // 000000008CE0: 7E684134
	v_exp_f32_e32 v53, v53                                     // 000000008CE4: 7E6A4135
	v_exp_f32_e32 v54, v54                                     // 000000008CE8: 7E6C4136
	v_exp_f32_e32 v55, v55                                     // 000000008CEC: 7E6E4137
	v_pk_fma_f32 v[56:57], v[56:57], s[68:69], v[184:185]      // 000000008CF0: D3B04038 1EE08938
	v_pk_fma_f32 v[58:59], v[58:59], s[68:69], v[184:185]      // 000000008CF8: D3B0403A 1EE0893A
	v_exp_f32_e32 v56, v56                                     // 000000008D00: 7E704138
	v_exp_f32_e32 v57, v57                                     // 000000008D04: 7E724139
	v_exp_f32_e32 v58, v58                                     // 000000008D08: 7E74413A
	v_exp_f32_e32 v59, v59                                     // 000000008D0C: 7E76413B
	v_mul_f32_dpp v60, v131, v28 row_newbcast:0 row_mask:0xf bank_mask:0xf// 000000008D10: 0A7838FA FF015083
	v_mul_f32_dpp v61, v131, v29 row_newbcast:1 row_mask:0xf bank_mask:0xf// 000000008D18: 0A7A3AFA FF015183
	v_mul_f32_dpp v62, v131, v30 row_newbcast:2 row_mask:0xf bank_mask:0xf// 000000008D20: 0A7C3CFA FF015283
	v_mul_f32_dpp v63, v131, v31 row_newbcast:3 row_mask:0xf bank_mask:0xf// 000000008D28: 0A7E3EFA FF015383
	v_mul_f32_dpp v64, v131, v32 row_newbcast:4 row_mask:0xf bank_mask:0xf// 000000008D30: 0A8040FA FF015483
	v_mul_f32_dpp v65, v131, v33 row_newbcast:5 row_mask:0xf bank_mask:0xf// 000000008D38: 0A8242FA FF015583
	v_mul_f32_dpp v66, v131, v34 row_newbcast:6 row_mask:0xf bank_mask:0xf// 000000008D40: 0A8444FA FF015683
	v_mul_f32_dpp v67, v131, v35 row_newbcast:7 row_mask:0xf bank_mask:0xf// 000000008D48: 0A8646FA FF015783
	v_mul_f32_dpp v68, v131, v36 row_newbcast:8 row_mask:0xf bank_mask:0xf// 000000008D50: 0A8848FA FF015883
	v_mul_f32_dpp v69, v131, v37 row_newbcast:9 row_mask:0xf bank_mask:0xf// 000000008D58: 0A8A4AFA FF015983
	v_mul_f32_dpp v70, v131, v38 row_newbcast:10 row_mask:0xf bank_mask:0xf// 000000008D60: 0A8C4CFA FF015A83
	v_mul_f32_dpp v71, v131, v39 row_newbcast:11 row_mask:0xf bank_mask:0xf// 000000008D68: 0A8E4EFA FF015B83
	v_mul_f32_dpp v72, v131, v40 row_newbcast:12 row_mask:0xf bank_mask:0xf// 000000008D70: 0A9050FA FF015C83
	v_mul_f32_dpp v73, v131, v41 row_newbcast:13 row_mask:0xf bank_mask:0xf// 000000008D78: 0A9252FA FF015D83
	v_mul_f32_dpp v74, v131, v42 row_newbcast:14 row_mask:0xf bank_mask:0xf// 000000008D80: 0A9454FA FF015E83
	v_mul_f32_dpp v75, v131, v43 row_newbcast:15 row_mask:0xf bank_mask:0xf// 000000008D88: 0A9656FA FF015F83
	v_mul_f32_dpp v76, v131, v44 row_newbcast:0 row_mask:0xf bank_mask:0xf// 000000008D90: 0A9858FA FF015083
	v_mul_f32_dpp v77, v131, v45 row_newbcast:1 row_mask:0xf bank_mask:0xf// 000000008D98: 0A9A5AFA FF015183
	v_mul_f32_dpp v78, v131, v46 row_newbcast:2 row_mask:0xf bank_mask:0xf// 000000008DA0: 0A9C5CFA FF015283
	v_mul_f32_dpp v79, v131, v47 row_newbcast:3 row_mask:0xf bank_mask:0xf// 000000008DA8: 0A9E5EFA FF015383
	v_mul_f32_dpp v80, v131, v48 row_newbcast:4 row_mask:0xf bank_mask:0xf// 000000008DB0: 0AA060FA FF015483
	v_mul_f32_dpp v81, v131, v49 row_newbcast:5 row_mask:0xf bank_mask:0xf// 000000008DB8: 0AA262FA FF015583
	v_mul_f32_dpp v82, v131, v50 row_newbcast:6 row_mask:0xf bank_mask:0xf// 000000008DC0: 0AA464FA FF015683
	v_mul_f32_dpp v83, v131, v51 row_newbcast:7 row_mask:0xf bank_mask:0xf// 000000008DC8: 0AA666FA FF015783
	v_mul_f32_dpp v84, v131, v52 row_newbcast:8 row_mask:0xf bank_mask:0xf// 000000008DD0: 0AA868FA FF015883
	v_mul_f32_dpp v85, v131, v53 row_newbcast:9 row_mask:0xf bank_mask:0xf// 000000008DD8: 0AAA6AFA FF015983
	v_mul_f32_dpp v86, v131, v54 row_newbcast:10 row_mask:0xf bank_mask:0xf// 000000008DE0: 0AAC6CFA FF015A83
	v_mul_f32_dpp v87, v131, v55 row_newbcast:11 row_mask:0xf bank_mask:0xf// 000000008DE8: 0AAE6EFA FF015B83
	v_mul_f32_dpp v88, v131, v56 row_newbcast:12 row_mask:0xf bank_mask:0xf// 000000008DF0: 0AB070FA FF015C83
	v_mul_f32_dpp v89, v131, v57 row_newbcast:13 row_mask:0xf bank_mask:0xf// 000000008DF8: 0AB272FA FF015D83
	v_mul_f32_dpp v90, v131, v58 row_newbcast:14 row_mask:0xf bank_mask:0xf// 000000008E00: 0AB474FA FF015E83
	v_mul_f32_dpp v91, v131, v59 row_newbcast:15 row_mask:0xf bank_mask:0xf// 000000008E08: 0AB676FA FF015F83
	v_mov_b32_e32 v148, 0x358637bd                             // 000000008E10: 7F2802FF 358637BD
	v_max3_f32 v148, |v60|, |v61|, v148                        // 000000008E18: D1D30394 06527B3C
	v_max3_f32 v148, |v62|, |v63|, v148                        // 000000008E20: D1D30394 06527F3E
	v_max3_f32 v148, |v64|, |v65|, v148                        // 000000008E28: D1D30394 06528340
	v_max3_f32 v148, |v66|, |v67|, v148                        // 000000008E30: D1D30394 06528742
	v_max3_f32 v148, |v68|, |v69|, v148                        // 000000008E38: D1D30394 06528B44
	v_max3_f32 v148, |v70|, |v71|, v148                        // 000000008E40: D1D30394 06528F46
	v_max3_f32 v148, |v72|, |v73|, v148                        // 000000008E48: D1D30394 06529348
	v_max3_f32 v148, |v74|, |v75|, v148                        // 000000008E50: D1D30394 0652974A
	v_mov_b32_e32 v149, 0x358637bd                             // 000000008E58: 7F2A02FF 358637BD
	v_max3_f32 v149, |v76|, |v77|, v149                        // 000000008E60: D1D30395 06569B4C
	v_max3_f32 v149, |v78|, |v79|, v149                        // 000000008E68: D1D30395 06569F4E
	v_max3_f32 v149, |v80|, |v81|, v149                        // 000000008E70: D1D30395 0656A350
	v_max3_f32 v149, |v82|, |v83|, v149                        // 000000008E78: D1D30395 0656A752
	v_max3_f32 v149, |v84|, |v85|, v149                        // 000000008E80: D1D30395 0656AB54
	v_max3_f32 v149, |v86|, |v87|, v149                        // 000000008E88: D1D30395 0656AF56
	v_max3_f32 v149, |v88|, |v89|, v149                        // 000000008E90: D1D30395 0656B358
	v_max3_f32 v149, |v90|, |v91|, v149                        // 000000008E98: D1D30395 0656B75A
	ds_write_b64 v214, v[148:149] offset:2304                  // 000000008EA0: D89A0900 000094D6
	buffer_load_dword v128, v206, s[28:31], 0 offen            // 000000008EA8: E0501000 800780CE
	v_sub_f32_e32 v140, v136, v138                             // 000000008EB0: 05191588
	v_cmp_eq_u32_e64 s[92:93], v195, v136                      // 000000008EB4: D0CA005C 000311C3
	s_nop 0                                                    // 000000008EBC: BF800000
	v_cndmask_b32_e64 v140, v140, 0, s[92:93]                  // 000000008EC0: D100008C 0171018C
	v_mov_b32_e32 v136, v138                                   // 000000008EC8: 7F10038A
	v_mul_f32_e32 v140, s51, v140                              // 000000008ECC: 0B191833
	v_exp_f32_e32 v140, v140                                   // 000000008ED0: 7F18418C
	v_sub_f32_e32 v142, v137, v139                             // 000000008ED4: 051D1789
	v_cmp_eq_u32_e64 s[92:93], v195, v137                      // 000000008ED8: D0CA005C 000313C3
	s_nop 0                                                    // 000000008EE0: BF800000
	v_cndmask_b32_e64 v142, v142, 0, s[92:93]                  // 000000008EE4: D100008E 0171018E
	v_mov_b32_e32 v137, v139                                   // 000000008EEC: 7F12038B
	v_mul_f32_e32 v142, s51, v142                              // 000000008EF0: 0B1D1C33
	v_exp_f32_e32 v142, v142                                   // 000000008EF4: 7F1C418E
	v_mov_b32_e32 v141, v140                                   // 000000008EF8: 7F1A038C
	v_mov_b32_e32 v143, v142                                   // 000000008EFC: 7F1E038E
	buffer_load_dword v130, v207, s[32:35], 0 offen            // 000000008F00: E0501000 800882CF
	s_waitcnt lgkmcnt(0)                                       // 000000008F08: BF8CC07F
	s_barrier                                                  // 000000008F0C: BF8A0000
	v_mul_f32_e32 v144, v140, v144                             // 000000008F10: 0B21218C
	v_add_f32_e32 v144, v28, v144                              // 000000008F14: 0321211C
	v_add_f32_e32 v144, v29, v144                              // 000000008F18: 0321211D
	v_add_f32_e32 v144, v30, v144                              // 000000008F1C: 0321211E
	v_add_f32_e32 v144, v31, v144                              // 000000008F20: 0321211F
	v_add_f32_e32 v144, v32, v144                              // 000000008F24: 03212120
	v_add_f32_e32 v144, v33, v144                              // 000000008F28: 03212121
	v_add_f32_e32 v144, v34, v144                              // 000000008F2C: 03212122
	v_add_f32_e32 v144, v35, v144                              // 000000008F30: 03212123
	v_add_f32_e32 v144, v36, v144                              // 000000008F34: 03212124
	v_add_f32_e32 v144, v37, v144                              // 000000008F38: 03212125
	v_add_f32_e32 v144, v38, v144                              // 000000008F3C: 03212126
	v_add_f32_e32 v144, v39, v144                              // 000000008F40: 03212127
	v_add_f32_e32 v144, v40, v144                              // 000000008F44: 03212128
	v_add_f32_e32 v144, v41, v144                              // 000000008F48: 03212129
	v_add_f32_e32 v144, v42, v144                              // 000000008F4C: 0321212A
	v_add_f32_e32 v144, v43, v144                              // 000000008F50: 0321212B
	v_mul_f32_e32 v145, v142, v145                             // 000000008F54: 0B23238E
	v_add_f32_e32 v145, v44, v145                              // 000000008F58: 0323232C
	v_add_f32_e32 v145, v45, v145                              // 000000008F5C: 0323232D
	v_add_f32_e32 v145, v46, v145                              // 000000008F60: 0323232E
	v_add_f32_e32 v145, v47, v145                              // 000000008F64: 0323232F
	v_add_f32_e32 v145, v48, v145                              // 000000008F68: 03232330
	v_add_f32_e32 v145, v49, v145                              // 000000008F6C: 03232331
	v_add_f32_e32 v145, v50, v145                              // 000000008F70: 03232332
	v_add_f32_e32 v145, v51, v145                              // 000000008F74: 03232333
	v_add_f32_e32 v145, v52, v145                              // 000000008F78: 03232334
	v_add_f32_e32 v145, v53, v145                              // 000000008F7C: 03232335
	v_add_f32_e32 v145, v54, v145                              // 000000008F80: 03232336
	v_add_f32_e32 v145, v55, v145                              // 000000008F84: 03232337
	v_add_f32_e32 v145, v56, v145                              // 000000008F88: 03232338
	v_add_f32_e32 v145, v57, v145                              // 000000008F8C: 03232339
	v_add_f32_e32 v145, v58, v145                              // 000000008F90: 0323233A
	v_add_f32_e32 v145, v59, v145                              // 000000008F94: 0323233B
	ds_read_b64 v[152:153], v215 offset:2304                   // 000000008F98: D8EC0900 980000D7
	ds_read_b64 v[154:155], v215 offset:2432                   // 000000008FA0: D8EC0980 9A0000D7
	ds_read_b64 v[156:157], v215 offset:2560                   // 000000008FA8: D8EC0A00 9C0000D7
	ds_read_b64 v[158:159], v215 offset:2688                   // 000000008FB0: D8EC0A80 9E0000D7
	ds_read_b64 v[160:161], v215 offset:2816                   // 000000008FB8: D8EC0B00 A00000D7
	ds_read_b64 v[162:163], v215 offset:2944                   // 000000008FC0: D8EC0B80 A20000D7
	ds_read_b64 v[164:165], v215 offset:3072                   // 000000008FC8: D8EC0C00 A40000D7
	ds_read_b64 v[166:167], v215 offset:3200                   // 000000008FD0: D8EC0C80 A60000D7
	ds_read_b64 v[168:169], v215 offset:3328                   // 000000008FD8: D8EC0D00 A80000D7
	ds_read_b64 v[170:171], v215 offset:3456                   // 000000008FE0: D8EC0D80 AA0000D7
	ds_read_b64 v[172:173], v215 offset:3584                   // 000000008FE8: D8EC0E00 AC0000D7
	ds_read_b64 v[174:175], v215 offset:3712                   // 000000008FF0: D8EC0E80 AE0000D7
	ds_read_b64 v[176:177], v215 offset:3840                   // 000000008FF8: D8EC0F00 B00000D7
	ds_read_b64 v[178:179], v215 offset:3968                   // 000000009000: D8EC0F80 B20000D7
	ds_read_b64 v[180:181], v215 offset:4096                   // 000000009008: D8EC1000 B40000D7
	ds_read_b64 v[182:183], v215 offset:4224                   // 000000009010: D8EC1080 B60000D7
	s_waitcnt lgkmcnt(0)                                       // 000000009018: BF8CC07F
	v_max3_f32 v148, v152, v154, v148                          // 00000000901C: D1D30094 06533598
	v_max3_f32 v149, v153, v155, v149                          // 000000009024: D1D30095 06573799
	v_max3_f32 v148, v156, v158, v148                          // 00000000902C: D1D30094 06533D9C
	v_max3_f32 v149, v157, v159, v149                          // 000000009034: D1D30095 06573F9D
	v_max3_f32 v148, v160, v162, v148                          // 00000000903C: D1D30094 065345A0
	v_max3_f32 v149, v161, v163, v149                          // 000000009044: D1D30095 065747A1
	v_max3_f32 v148, v164, v166, v148                          // 00000000904C: D1D30094 06534DA4
	v_max3_f32 v149, v165, v167, v149                          // 000000009054: D1D30095 06574FA5
	v_max3_f32 v148, v168, v170, v148                          // 00000000905C: D1D30094 065355A8
	v_max3_f32 v149, v169, v171, v149                          // 000000009064: D1D30095 065757A9
	v_max3_f32 v148, v172, v174, v148                          // 00000000906C: D1D30094 06535DAC
	v_max3_f32 v149, v173, v175, v149                          // 000000009074: D1D30095 06575FAD
	v_max3_f32 v148, v176, v178, v148                          // 00000000907C: D1D30094 065365B0
	v_max3_f32 v149, v177, v179, v149                          // 000000009084: D1D30095 065767B1
	v_max3_f32 v148, v180, v182, v148                          // 00000000908C: D1D30094 06536DB4
	v_max3_f32 v149, v181, v183, v149                          // 000000009094: D1D30095 06576FB5
	v_rcp_f32_e32 v148, v148                                   // 00000000909C: 7F284594
	v_rcp_f32_e32 v149, v149                                   // 0000000090A0: 7F2A4595
	v_mul_f32_e32 v148, 0x43700000, v148                       // 0000000090A4: 0B2928FF 43700000
	v_mul_f32_e32 v149, 0x43700000, v149                       // 0000000090AC: 0B2B2AFF 43700000
	v_mov_b32_e32 v150, v149                                   // 0000000090B4: 7F2C0395
	v_mov_b32_e32 v151, v149                                   // 0000000090B8: 7F2E0395
	v_mov_b32_e32 v149, v148                                   // 0000000090BC: 7F2A0394
	v_pk_mul_f32 v[28:29], v[148:149], v[60:61]                // 0000000090C0: D3B1401C 18027994
	v_pk_mul_f32 v[30:31], v[148:149], v[62:63]                // 0000000090C8: D3B1401E 18027D94
	v_pk_mul_f32 v[32:33], v[148:149], v[64:65]                // 0000000090D0: D3B14020 18028194
	v_pk_mul_f32 v[34:35], v[148:149], v[66:67]                // 0000000090D8: D3B14022 18028594
	v_pk_mul_f32 v[36:37], v[148:149], v[68:69]                // 0000000090E0: D3B14024 18028994
	v_pk_mul_f32 v[38:39], v[148:149], v[70:71]                // 0000000090E8: D3B14026 18028D94
	v_pk_mul_f32 v[40:41], v[148:149], v[72:73]                // 0000000090F0: D3B14028 18029194
	v_pk_mul_f32 v[42:43], v[148:149], v[74:75]                // 0000000090F8: D3B1402A 18029594
	v_pk_mul_f32 v[44:45], v[150:151], v[76:77]                // 000000009100: D3B1402C 18029996
	v_pk_mul_f32 v[46:47], v[150:151], v[78:79]                // 000000009108: D3B1402E 18029D96
	v_pk_mul_f32 v[48:49], v[150:151], v[80:81]                // 000000009110: D3B14030 1802A196
	v_pk_mul_f32 v[50:51], v[150:151], v[82:83]                // 000000009118: D3B14032 1802A596
	v_pk_mul_f32 v[52:53], v[150:151], v[84:85]                // 000000009120: D3B14034 1802A996
	v_pk_mul_f32 v[54:55], v[150:151], v[86:87]                // 000000009128: D3B14036 1802AD96
	v_pk_mul_f32 v[56:57], v[150:151], v[88:89]                // 000000009130: D3B14038 1802B196
	v_pk_mul_f32 v[58:59], v[150:151], v[90:91]                // 000000009138: D3B1403A 1802B596
	v_cvt_pk_fp8_f32 v28, v28, v29                             // 000000009140: D2A2001C 00023B1C
	v_cvt_pk_fp8_f32 v28, v30, v31 op_sel:[0,0,1]              // 000000009148: D2A2401C 00023F1E
	v_cvt_pk_fp8_f32 v29, v32, v33                             // 000000009150: D2A2001D 00024320
	v_cvt_pk_fp8_f32 v29, v34, v35 op_sel:[0,0,1]              // 000000009158: D2A2401D 00024722
	v_cvt_pk_fp8_f32 v30, v36, v37                             // 000000009160: D2A2001E 00024B24
	v_cvt_pk_fp8_f32 v30, v38, v39 op_sel:[0,0,1]              // 000000009168: D2A2401E 00024F26
	v_cvt_pk_fp8_f32 v31, v40, v41                             // 000000009170: D2A2001F 00025328
	v_cvt_pk_fp8_f32 v31, v42, v43 op_sel:[0,0,1]              // 000000009178: D2A2401F 0002572A
	v_cvt_pk_fp8_f32 v32, v44, v45                             // 000000009180: D2A20020 00025B2C
	v_cvt_pk_fp8_f32 v32, v46, v47 op_sel:[0,0,1]              // 000000009188: D2A24020 00025F2E
	v_cvt_pk_fp8_f32 v33, v48, v49                             // 000000009190: D2A20021 00026330
	v_cvt_pk_fp8_f32 v33, v50, v51 op_sel:[0,0,1]              // 000000009198: D2A24021 00026732
	v_cvt_pk_fp8_f32 v34, v52, v53                             // 0000000091A0: D2A20022 00026B34
	v_cvt_pk_fp8_f32 v34, v54, v55 op_sel:[0,0,1]              // 0000000091A8: D2A24022 00026F36
	v_cvt_pk_fp8_f32 v35, v56, v57                             // 0000000091B0: D2A20023 00027338
	v_cvt_pk_fp8_f32 v35, v58, v59 op_sel:[0,0,1]              // 0000000091B8: D2A24023 0002773A
	ds_write_b32 v216, v28 offset:4608                         // 0000000091C0: D81A1200 00001CD8
	ds_write_b32 v216, v29 offset:5632                         // 0000000091C8: D81A1600 00001DD8
	ds_write_b32 v216, v30 offset:6656                         // 0000000091D0: D81A1A00 00001ED8
	ds_write_b32 v216, v31 offset:7680                         // 0000000091D8: D81A1E00 00001FD8
	ds_write_b32 v216, v32 offset:8704                         // 0000000091E0: D81A2200 000020D8
	ds_write_b32 v216, v33 offset:9728                         // 0000000091E8: D81A2600 000021D8
	ds_write_b32 v216, v34 offset:10752                        // 0000000091F0: D81A2A00 000022D8
	ds_write_b32 v216, v35 offset:11776                        // 0000000091F8: D81A2E00 000023D8
	v_rcp_f32_e32 v132, v148                                   // 000000009200: 7F084594
	v_rcp_f32_e32 v134, v150                                   // 000000009204: 7F0C4596
	v_mov_b32_e32 v133, v132                                   // 000000009208: 7F0A0384
	v_mov_b32_e32 v135, v134                                   // 00000000920C: 7F0E0386
	v_pk_add_f32 v[108:109], v[108:109], v[92:93]              // 000000009210: D3B2406C 1802B96C
	v_pk_add_f32 v[110:111], v[110:111], v[94:95]              // 000000009218: D3B2406E 1802BD6E
	v_pk_add_f32 v[112:113], v[112:113], v[96:97]              // 000000009220: D3B24070 1802C170
	v_pk_add_f32 v[114:115], v[114:115], v[98:99]              // 000000009228: D3B24072 1802C572
	v_pk_add_f32 v[116:117], v[116:117], v[100:101]            // 000000009230: D3B24074 1802C974
	v_pk_add_f32 v[118:119], v[118:119], v[102:103]            // 000000009238: D3B24076 1802CD76
	v_pk_add_f32 v[120:121], v[120:121], v[104:105]            // 000000009240: D3B24078 1802D178
	v_pk_add_f32 v[122:123], v[122:123], v[106:107]            // 000000009248: D3B2407A 1802D57A
	s_waitcnt lgkmcnt(0)                                       // 000000009250: BF8CC07F
	s_barrier                                                  // 000000009254: BF8A0000
	ds_read_b128 v[28:31], v217 offset:4608                    // 000000009258: D9FE1200 1C0000D9
	ds_read_b128 v[32:35], v217 offset:5632                    // 000000009260: D9FE1600 200000D9
	ds_read_b128 v[36:39], v217 offset:6656                    // 000000009268: D9FE1A00 240000D9
	ds_read_b128 v[40:43], v217 offset:7680                    // 000000009270: D9FE1E00 280000D9
	ds_read_b128 v[44:47], v217 offset:8704                    // 000000009278: D9FE2200 2C0000D9
	ds_read_b128 v[48:51], v217 offset:9728                    // 000000009280: D9FE2600 300000D9
	ds_read_b128 v[52:55], v217 offset:10752                   // 000000009288: D9FE2A00 340000D9
	ds_read_b128 v[56:59], v217 offset:11776                   // 000000009290: D9FE2E00 380000D9
	s_waitcnt vmcnt(10)                                        // 000000009298: BF8C0F7A
	s_waitcnt lgkmcnt(7)                                       // 00000000929C: BF8CC77F
	v_mfma_f32_16x16x32_fp8_fp8 v[92:95], a[96:97], v[28:29], 0// 0000000092A0: D3F3005C 0A023960
	v_mfma_f32_16x16x32_fp8_fp8 v[96:99], a[112:113], v[28:29], 0// 0000000092A8: D3F30060 0A023970
	v_mfma_f32_16x16x32_fp8_fp8 v[92:95], a[98:99], v[30:31], v[92:95]// 0000000092B0: D3F3005C 0D723D62
	buffer_load_dwordx4 a[64:67], v202, s[16:19], 0 offen      // 0000000092B8: E05C1000 808440CA
	v_mfma_f32_16x16x32_fp8_fp8 v[96:99], a[114:115], v[30:31], v[96:99]// 0000000092C0: D3F30060 0D823D72
	s_waitcnt lgkmcnt(6)                                       // 0000000092C8: BF8CC67F
	v_mfma_f32_16x16x32_fp8_fp8 v[92:95], a[100:101], v[32:33], v[92:95]// 0000000092CC: D3F3005C 0D724164
	v_mfma_f32_16x16x32_fp8_fp8 v[96:99], a[116:117], v[32:33], v[96:99]// 0000000092D4: D3F30060 0D824174
	v_mfma_f32_16x16x32_fp8_fp8 v[92:95], a[102:103], v[34:35], v[92:95]// 0000000092DC: D3F3005C 0D724566
	buffer_load_dwordx4 a[68:71], v203, s[16:19], 0 offen      // 0000000092E4: E05C1000 808444CB
	v_mfma_f32_16x16x32_fp8_fp8 v[96:99], a[118:119], v[34:35], v[96:99]// 0000000092EC: D3F30060 0D824576
	s_waitcnt lgkmcnt(5)                                       // 0000000092F4: BF8CC57F
	v_mfma_f32_16x16x32_fp8_fp8 v[92:95], a[104:105], v[36:37], v[92:95]// 0000000092F8: D3F3005C 0D724968
	v_mfma_f32_16x16x32_fp8_fp8 v[96:99], a[120:121], v[36:37], v[96:99]// 000000009300: D3F30060 0D824978
	v_mfma_f32_16x16x32_fp8_fp8 v[92:95], a[106:107], v[38:39], v[92:95]// 000000009308: D3F3005C 0D724D6A
	buffer_load_dwordx4 a[72:75], v204, s[16:19], 0 offen      // 000000009310: E05C1000 808448CC
	v_mfma_f32_16x16x32_fp8_fp8 v[96:99], a[122:123], v[38:39], v[96:99]// 000000009318: D3F30060 0D824D7A
	s_waitcnt lgkmcnt(4)                                       // 000000009320: BF8CC47F
	v_mfma_f32_16x16x32_fp8_fp8 v[92:95], a[108:109], v[40:41], v[92:95]// 000000009324: D3F3005C 0D72516C
	v_mfma_f32_16x16x32_fp8_fp8 v[96:99], a[124:125], v[40:41], v[96:99]// 00000000932C: D3F30060 0D82517C
	v_mfma_f32_16x16x32_fp8_fp8 v[92:95], a[110:111], v[42:43], v[92:95]// 000000009334: D3F3005C 0D72556E
	buffer_load_dwordx4 a[76:79], v205, s[16:19], 0 offen      // 00000000933C: E05C1000 80844CCD
	v_mfma_f32_16x16x32_fp8_fp8 v[96:99], a[126:127], v[42:43], v[96:99]// 000000009344: D3F30060 0D82557E
	s_waitcnt lgkmcnt(3)                                       // 00000000934C: BF8CC37F
	v_mfma_f32_16x16x32_fp8_fp8 v[100:103], a[96:97], v[44:45], 0// 000000009350: D3F30064 0A025960
	v_mfma_f32_16x16x32_fp8_fp8 v[104:107], a[112:113], v[44:45], 0// 000000009358: D3F30068 0A025970
	v_mfma_f32_16x16x32_fp8_fp8 v[100:103], a[98:99], v[46:47], v[100:103]// 000000009360: D3F30064 0D925D62
	buffer_load_dwordx4 a[80:83], v202, s[16:19], 0 offen offset:1024// 000000009368: E05C1400 808450CA
	v_mfma_f32_16x16x32_fp8_fp8 v[104:107], a[114:115], v[46:47], v[104:107]// 000000009370: D3F30068 0DA25D72
	s_waitcnt lgkmcnt(2)                                       // 000000009378: BF8CC27F
	v_mfma_f32_16x16x32_fp8_fp8 v[100:103], a[100:101], v[48:49], v[100:103]// 00000000937C: D3F30064 0D926164
	v_mfma_f32_16x16x32_fp8_fp8 v[104:107], a[116:117], v[48:49], v[104:107]// 000000009384: D3F30068 0DA26174
	v_mfma_f32_16x16x32_fp8_fp8 v[100:103], a[102:103], v[50:51], v[100:103]// 00000000938C: D3F30064 0D926566
	buffer_load_dwordx4 a[84:87], v203, s[16:19], 0 offen offset:1024// 000000009394: E05C1400 808454CB
	v_mfma_f32_16x16x32_fp8_fp8 v[104:107], a[118:119], v[50:51], v[104:107]// 00000000939C: D3F30068 0DA26576
	s_waitcnt lgkmcnt(1)                                       // 0000000093A4: BF8CC17F
	v_mfma_f32_16x16x32_fp8_fp8 v[100:103], a[104:105], v[52:53], v[100:103]// 0000000093A8: D3F30064 0D926968
	v_mfma_f32_16x16x32_fp8_fp8 v[104:107], a[120:121], v[52:53], v[104:107]// 0000000093B0: D3F30068 0DA26978
	v_mfma_f32_16x16x32_fp8_fp8 v[100:103], a[106:107], v[54:55], v[100:103]// 0000000093B8: D3F30064 0D926D6A
	buffer_load_dwordx4 a[88:91], v204, s[16:19], 0 offen offset:1024// 0000000093C0: E05C1400 808458CC
	v_mfma_f32_16x16x32_fp8_fp8 v[104:107], a[122:123], v[54:55], v[104:107]// 0000000093C8: D3F30068 0DA26D7A
	s_waitcnt lgkmcnt(0)                                       // 0000000093D0: BF8CC07F
	v_mfma_f32_16x16x32_fp8_fp8 v[100:103], a[108:109], v[56:57], v[100:103]// 0000000093D4: D3F30064 0D92716C
	v_mfma_f32_16x16x32_fp8_fp8 v[104:107], a[124:125], v[56:57], v[104:107]// 0000000093DC: D3F30068 0DA2717C
	v_mfma_f32_16x16x32_fp8_fp8 v[100:103], a[110:111], v[58:59], v[100:103]// 0000000093E4: D3F30064 0D92756E
	buffer_load_dwordx4 a[92:95], v205, s[16:19], 0 offen offset:1024// 0000000093EC: E05C1400 80845CCD
	v_mfma_f32_16x16x32_fp8_fp8 v[104:107], a[126:127], v[58:59], v[104:107]// 0000000093F4: D3F30068 0DA2757E
	s_addk_i32 s49, 0x100                                      // 0000000093FC: B7310100
	s_branch label_0F88                                        // 000000009400: BF82F2C7

0000000000009404 <label_1CC1>:
	s_cmp_lt_i32 s49, s60                                      // 000000009404: BF043C31
	s_cbranch_scc0 label_2D59                                  // 000000009408: BF841096
	s_waitcnt vmcnt(10)                                        // 00000000940C: BF8C0F7A
	v_mfma_f32_16x16x32_fp8_fp8 v[28:31], a[0:1], v[12:13], 0  // 000000009410: D3F3001C 0A021900
	s_add_u32 s12, s84, s64                                    // 000000009418: 800C4054
	s_addc_u32 s13, s85, 0                                     // 00000000941C: 820D8055
	v_mfma_f32_16x16x32_fp8_fp8 v[28:31], a[2:3], v[14:15], v[28:31]// 000000009420: D3F3001C 0C721D02
	s_add_u32 s16, s86, s65                                    // 000000009428: 80104156
	s_addc_u32 s17, s87, 0                                     // 00000000942C: 82118057
	v_mfma_f32_16x16x32_fp8_fp8 v[28:31], a[4:5], v[16:17], v[28:31]// 000000009430: D3F3001C 0C722104
	buffer_load_dwordx4 a[32:35], v200, s[12:15], 0 offen      // 000000009438: E05C1000 808320C8
	v_mfma_f32_16x16x32_fp8_fp8 v[28:31], a[6:7], v[18:19], v[28:31]// 000000009440: D3F3001C 0C722506
	s_add_u32 s28, s88, s66                                    // 000000009448: 801C4258
	s_addc_u32 s29, s89, 0                                     // 00000000944C: 821D8059
	v_mfma_f32_16x16x32_fp8_fp8 v[32:35], a[8:9], v[12:13], 0  // 000000009450: D3F30020 0A021908
	s_add_u32 s32, s90, s66                                    // 000000009458: 8020425A
	s_addc_u32 s33, s91, 0                                     // 00000000945C: 8221805B
	v_mfma_f32_16x16x32_fp8_fp8 v[32:35], a[10:11], v[14:15], v[32:35]// 000000009460: D3F30020 0C821D0A
	s_add_u32 s64, s64, 0x1000                                 // 000000009468: 8040FF40 00001000
	s_add_u32 s65, s65, 0x8000                                 // 000000009470: 8041FF41 00008000
	v_mfma_f32_16x16x32_fp8_fp8 v[32:35], a[12:13], v[16:17], v[32:35]// 000000009478: D3F30020 0C82210C
	buffer_load_dwordx4 a[36:39], v201, s[12:15], 0 offen      // 000000009480: E05C1000 808324C9
	v_mfma_f32_16x16x32_fp8_fp8 v[32:35], a[14:15], v[18:19], v[32:35]// 000000009488: D3F30020 0C82250E
	s_add_u32 s66, s66, 0x400                                  // 000000009490: 8042FF42 00000400
	v_mfma_f32_16x16x32_fp8_fp8 v[36:39], a[16:17], v[12:13], 0// 000000009498: D3F30024 0A021910
	v_mfma_f32_16x16x32_fp8_fp8 v[36:39], a[18:19], v[14:15], v[36:39]// 0000000094A0: D3F30024 0C921D12
	v_mfma_f32_16x16x32_fp8_fp8 v[36:39], a[20:21], v[16:17], v[36:39]// 0000000094A8: D3F30024 0C922114
	buffer_load_dwordx4 a[40:43], v200, s[12:15], 0 offen offset:1024// 0000000094B0: E05C1400 808328C8
	v_mfma_f32_16x16x32_fp8_fp8 v[36:39], a[22:23], v[18:19], v[36:39]// 0000000094B8: D3F30024 0C922516
	v_mfma_f32_16x16x32_fp8_fp8 v[40:43], a[24:25], v[12:13], 0// 0000000094C0: D3F30028 0A021918
	v_mfma_f32_16x16x32_fp8_fp8 v[40:43], a[26:27], v[14:15], v[40:43]// 0000000094C8: D3F30028 0CA21D1A
	v_mfma_f32_16x16x32_fp8_fp8 v[40:43], a[28:29], v[16:17], v[40:43]// 0000000094D0: D3F30028 0CA2211C
	buffer_load_dwordx4 a[44:47], v201, s[12:15], 0 offen offset:1024// 0000000094D8: E05C1400 80832CC9
	v_mfma_f32_16x16x32_fp8_fp8 v[40:43], a[30:31], v[18:19], v[40:43]// 0000000094E0: D3F30028 0CA2251E
	v_mfma_f32_16x16x32_fp8_fp8 v[44:47], a[0:1], v[20:21], 0  // 0000000094E8: D3F3002C 0A022900
	v_mfma_f32_16x16x32_fp8_fp8 v[44:47], a[2:3], v[22:23], v[44:47]// 0000000094F0: D3F3002C 0CB22D02
	v_mfma_f32_16x16x32_fp8_fp8 v[44:47], a[4:5], v[24:25], v[44:47]// 0000000094F8: D3F3002C 0CB23104
	buffer_load_dwordx4 a[48:51], v200, s[12:15], 0 offen offset:2048// 000000009500: E05C1800 808330C8
	v_mfma_f32_16x16x32_fp8_fp8 v[44:47], a[6:7], v[26:27], v[44:47]// 000000009508: D3F3002C 0CB23506
	v_mfma_f32_16x16x32_fp8_fp8 v[48:51], a[8:9], v[20:21], 0  // 000000009510: D3F30030 0A022908
	v_mfma_f32_16x16x32_fp8_fp8 v[48:51], a[10:11], v[22:23], v[48:51]// 000000009518: D3F30030 0CC22D0A
	v_mfma_f32_16x16x32_fp8_fp8 v[48:51], a[12:13], v[24:25], v[48:51]// 000000009520: D3F30030 0CC2310C
	buffer_load_dwordx4 a[52:55], v201, s[12:15], 0 offen offset:2048// 000000009528: E05C1800 808334C9
	v_mfma_f32_16x16x32_fp8_fp8 v[48:51], a[14:15], v[26:27], v[48:51]// 000000009530: D3F30030 0CC2350E
	v_mfma_f32_16x16x32_fp8_fp8 v[52:55], a[16:17], v[20:21], 0// 000000009538: D3F30034 0A022910
	v_mfma_f32_16x16x32_fp8_fp8 v[52:55], a[18:19], v[22:23], v[52:55]// 000000009540: D3F30034 0CD22D12
	v_mfma_f32_16x16x32_fp8_fp8 v[52:55], a[20:21], v[24:25], v[52:55]// 000000009548: D3F30034 0CD23114
	buffer_load_dwordx4 a[56:59], v200, s[12:15], 0 offen offset:3072// 000000009550: E05C1C00 808338C8
	v_mfma_f32_16x16x32_fp8_fp8 v[52:55], a[22:23], v[26:27], v[52:55]// 000000009558: D3F30034 0CD23516
	v_mfma_f32_16x16x32_fp8_fp8 v[56:59], a[24:25], v[20:21], 0// 000000009560: D3F30038 0A022918
	v_mfma_f32_16x16x32_fp8_fp8 v[56:59], a[26:27], v[22:23], v[56:59]// 000000009568: D3F30038 0CE22D1A
	v_mfma_f32_16x16x32_fp8_fp8 v[56:59], a[28:29], v[24:25], v[56:59]// 000000009570: D3F30038 0CE2311C
	buffer_load_dwordx4 a[60:63], v201, s[12:15], 0 offen offset:3072// 000000009578: E05C1C00 80833CC9
	v_mfma_f32_16x16x32_fp8_fp8 v[56:59], a[30:31], v[26:27], v[56:59]// 000000009580: D3F30038 0CE2351E
	s_waitcnt vmcnt(16)                                        // 000000009588: BF8C4F70
	v_pk_mul_f32 v[28:29], v[124:125], v[28:29]                // 00000000958C: D3B1401C 1802397C
	v_pk_mul_f32 v[30:31], v[124:125], v[30:31]                // 000000009594: D3B1401E 18023D7C
	v_mul_f32_dpp v28, v128, v28 row_newbcast:0 row_mask:0xf bank_mask:0xf// 00000000959C: 0A3838FA FF015080
	v_mul_f32_dpp v29, v128, v29 row_newbcast:1 row_mask:0xf bank_mask:0xf// 0000000095A4: 0A3A3AFA FF015180
	v_mul_f32_dpp v30, v128, v30 row_newbcast:2 row_mask:0xf bank_mask:0xf// 0000000095AC: 0A3C3CFA FF015280
	v_mul_f32_dpp v31, v128, v31 row_newbcast:3 row_mask:0xf bank_mask:0xf// 0000000095B4: 0A3E3EFA FF015380
	v_pk_mul_f32 v[32:33], v[124:125], v[32:33]                // 0000000095BC: D3B14020 1802417C
	v_pk_mul_f32 v[34:35], v[124:125], v[34:35]                // 0000000095C4: D3B14022 1802457C
	v_mul_f32_dpp v32, v128, v32 row_newbcast:4 row_mask:0xf bank_mask:0xf// 0000000095CC: 0A4040FA FF015480
	v_mul_f32_dpp v33, v128, v33 row_newbcast:5 row_mask:0xf bank_mask:0xf// 0000000095D4: 0A4242FA FF015580
	v_mul_f32_dpp v34, v128, v34 row_newbcast:6 row_mask:0xf bank_mask:0xf// 0000000095DC: 0A4444FA FF015680
	v_mul_f32_dpp v35, v128, v35 row_newbcast:7 row_mask:0xf bank_mask:0xf// 0000000095E4: 0A4646FA FF015780
	v_pk_mul_f32 v[36:37], v[124:125], v[36:37]                // 0000000095EC: D3B14024 1802497C
	v_pk_mul_f32 v[38:39], v[124:125], v[38:39]                // 0000000095F4: D3B14026 18024D7C
	v_mul_f32_dpp v36, v128, v36 row_newbcast:8 row_mask:0xf bank_mask:0xf// 0000000095FC: 0A4848FA FF015880
	v_mul_f32_dpp v37, v128, v37 row_newbcast:9 row_mask:0xf bank_mask:0xf// 000000009604: 0A4A4AFA FF015980
	v_mul_f32_dpp v38, v128, v38 row_newbcast:10 row_mask:0xf bank_mask:0xf// 00000000960C: 0A4C4CFA FF015A80
	v_mul_f32_dpp v39, v128, v39 row_newbcast:11 row_mask:0xf bank_mask:0xf// 000000009614: 0A4E4EFA FF015B80
	v_pk_mul_f32 v[40:41], v[124:125], v[40:41]                // 00000000961C: D3B14028 1802517C
	v_pk_mul_f32 v[42:43], v[124:125], v[42:43]                // 000000009624: D3B1402A 1802557C
	v_mul_f32_dpp v40, v128, v40 row_newbcast:12 row_mask:0xf bank_mask:0xf// 00000000962C: 0A5050FA FF015C80
	v_mul_f32_dpp v41, v128, v41 row_newbcast:13 row_mask:0xf bank_mask:0xf// 000000009634: 0A5252FA FF015D80
	v_mul_f32_dpp v42, v128, v42 row_newbcast:14 row_mask:0xf bank_mask:0xf// 00000000963C: 0A5454FA FF015E80
	v_mul_f32_dpp v43, v128, v43 row_newbcast:15 row_mask:0xf bank_mask:0xf// 000000009644: 0A5656FA FF015F80
	v_pk_mul_f32 v[44:45], v[126:127], v[44:45]                // 00000000964C: D3B1402C 1802597E
	v_pk_mul_f32 v[46:47], v[126:127], v[46:47]                // 000000009654: D3B1402E 18025D7E
	v_mul_f32_dpp v44, v128, v44 row_newbcast:0 row_mask:0xf bank_mask:0xf// 00000000965C: 0A5858FA FF015080
	v_mul_f32_dpp v45, v128, v45 row_newbcast:1 row_mask:0xf bank_mask:0xf// 000000009664: 0A5A5AFA FF015180
	v_mul_f32_dpp v46, v128, v46 row_newbcast:2 row_mask:0xf bank_mask:0xf// 00000000966C: 0A5C5CFA FF015280
	v_mul_f32_dpp v47, v128, v47 row_newbcast:3 row_mask:0xf bank_mask:0xf// 000000009674: 0A5E5EFA FF015380
	v_pk_mul_f32 v[48:49], v[126:127], v[48:49]                // 00000000967C: D3B14030 1802617E
	v_pk_mul_f32 v[50:51], v[126:127], v[50:51]                // 000000009684: D3B14032 1802657E
	v_mul_f32_dpp v48, v128, v48 row_newbcast:4 row_mask:0xf bank_mask:0xf// 00000000968C: 0A6060FA FF015480
	v_mul_f32_dpp v49, v128, v49 row_newbcast:5 row_mask:0xf bank_mask:0xf// 000000009694: 0A6262FA FF015580
	v_mul_f32_dpp v50, v128, v50 row_newbcast:6 row_mask:0xf bank_mask:0xf// 00000000969C: 0A6464FA FF015680
	v_mul_f32_dpp v51, v128, v51 row_newbcast:7 row_mask:0xf bank_mask:0xf// 0000000096A4: 0A6666FA FF015780
	v_pk_mul_f32 v[52:53], v[126:127], v[52:53]                // 0000000096AC: D3B14034 1802697E
	v_pk_mul_f32 v[54:55], v[126:127], v[54:55]                // 0000000096B4: D3B14036 18026D7E
	v_mul_f32_dpp v52, v128, v52 row_newbcast:8 row_mask:0xf bank_mask:0xf// 0000000096BC: 0A6868FA FF015880
	v_mul_f32_dpp v53, v128, v53 row_newbcast:9 row_mask:0xf bank_mask:0xf// 0000000096C4: 0A6A6AFA FF015980
	v_mul_f32_dpp v54, v128, v54 row_newbcast:10 row_mask:0xf bank_mask:0xf// 0000000096CC: 0A6C6CFA FF015A80
	v_mul_f32_dpp v55, v128, v55 row_newbcast:11 row_mask:0xf bank_mask:0xf// 0000000096D4: 0A6E6EFA FF015B80
	v_pk_mul_f32 v[56:57], v[126:127], v[56:57]                // 0000000096DC: D3B14038 1802717E
	v_pk_mul_f32 v[58:59], v[126:127], v[58:59]                // 0000000096E4: D3B1403A 1802757E
	v_mul_f32_dpp v56, v128, v56 row_newbcast:12 row_mask:0xf bank_mask:0xf// 0000000096EC: 0A7070FA FF015C80
	v_mul_f32_dpp v57, v128, v57 row_newbcast:13 row_mask:0xf bank_mask:0xf// 0000000096F4: 0A7272FA FF015D80
	v_mul_f32_dpp v58, v128, v58 row_newbcast:14 row_mask:0xf bank_mask:0xf// 0000000096FC: 0A7474FA FF015E80
	v_mul_f32_dpp v59, v128, v59 row_newbcast:15 row_mask:0xf bank_mask:0xf// 000000009704: 0A7676FA FF015F80
	v_add_u32_e32 v184, s49, v194                              // 00000000970C: 69718431
	v_add_u32_e32 v185, 0, v184                                // 000000009710: 69737080
	v_cmp_lt_u32_e64 s[92:93], v185, v192                      // 000000009714: D0C9005C 000381B9
	s_nop 0                                                    // 00000000971C: BF800000
	v_cndmask_b32_e64 v28, v195, v28, s[92:93]                 // 000000009720: D100001C 017239C3
	v_add_u32_e32 v185, 1, v184                                // 000000009728: 69737081
	v_cmp_lt_u32_e64 s[92:93], v185, v192                      // 00000000972C: D0C9005C 000381B9
	s_nop 0                                                    // 000000009734: BF800000
	v_cndmask_b32_e64 v29, v195, v29, s[92:93]                 // 000000009738: D100001D 01723BC3
	v_add_u32_e32 v185, 2, v184                                // 000000009740: 69737082
	v_cmp_lt_u32_e64 s[92:93], v185, v192                      // 000000009744: D0C9005C 000381B9
	s_nop 0                                                    // 00000000974C: BF800000
	v_cndmask_b32_e64 v30, v195, v30, s[92:93]                 // 000000009750: D100001E 01723DC3
	v_add_u32_e32 v185, 3, v184                                // 000000009758: 69737083
	v_cmp_lt_u32_e64 s[92:93], v185, v192                      // 00000000975C: D0C9005C 000381B9
	s_nop 0                                                    // 000000009764: BF800000
	v_cndmask_b32_e64 v31, v195, v31, s[92:93]                 // 000000009768: D100001F 01723FC3
	v_add_u32_e32 v185, 64, v184                               // 000000009770: 697370C0
	v_cmp_lt_u32_e64 s[92:93], v185, v192                      // 000000009774: D0C9005C 000381B9
	s_nop 0                                                    // 00000000977C: BF800000
	v_cndmask_b32_e64 v32, v195, v32, s[92:93]                 // 000000009780: D1000020 017241C3
	v_add_u32_e32 v185, 0x41, v184                             // 000000009788: 697370FF 00000041
	v_cmp_lt_u32_e64 s[92:93], v185, v192                      // 000000009790: D0C9005C 000381B9
	s_nop 0                                                    // 000000009798: BF800000
	v_cndmask_b32_e64 v33, v195, v33, s[92:93]                 // 00000000979C: D1000021 017243C3
	v_add_u32_e32 v185, 0x42, v184                             // 0000000097A4: 697370FF 00000042
	v_cmp_lt_u32_e64 s[92:93], v185, v192                      // 0000000097AC: D0C9005C 000381B9
	s_nop 0                                                    // 0000000097B4: BF800000
	v_cndmask_b32_e64 v34, v195, v34, s[92:93]                 // 0000000097B8: D1000022 017245C3
	v_add_u32_e32 v185, 0x43, v184                             // 0000000097C0: 697370FF 00000043
	v_cmp_lt_u32_e64 s[92:93], v185, v192                      // 0000000097C8: D0C9005C 000381B9
	s_nop 0                                                    // 0000000097D0: BF800000
	v_cndmask_b32_e64 v35, v195, v35, s[92:93]                 // 0000000097D4: D1000023 017247C3
	v_add_u32_e32 v185, 0x80, v184                             // 0000000097DC: 697370FF 00000080
	v_cmp_lt_u32_e64 s[92:93], v185, v192                      // 0000000097E4: D0C9005C 000381B9
	s_nop 0                                                    // 0000000097EC: BF800000
	v_cndmask_b32_e64 v36, v195, v36, s[92:93]                 // 0000000097F0: D1000024 017249C3
	v_add_u32_e32 v185, 0x81, v184                             // 0000000097F8: 697370FF 00000081
	v_cmp_lt_u32_e64 s[92:93], v185, v192                      // 000000009800: D0C9005C 000381B9
	s_nop 0                                                    // 000000009808: BF800000
	v_cndmask_b32_e64 v37, v195, v37, s[92:93]                 // 00000000980C: D1000025 01724BC3
	v_add_u32_e32 v185, 0x82, v184                             // 000000009814: 697370FF 00000082
	v_cmp_lt_u32_e64 s[92:93], v185, v192                      // 00000000981C: D0C9005C 000381B9
	s_nop 0                                                    // 000000009824: BF800000
	v_cndmask_b32_e64 v38, v195, v38, s[92:93]                 // 000000009828: D1000026 01724DC3
	v_add_u32_e32 v185, 0x83, v184                             // 000000009830: 697370FF 00000083
	v_cmp_lt_u32_e64 s[92:93], v185, v192                      // 000000009838: D0C9005C 000381B9
	s_nop 0                                                    // 000000009840: BF800000
	v_cndmask_b32_e64 v39, v195, v39, s[92:93]                 // 000000009844: D1000027 01724FC3
	v_add_u32_e32 v185, 0xc0, v184                             // 00000000984C: 697370FF 000000C0
	v_cmp_lt_u32_e64 s[92:93], v185, v192                      // 000000009854: D0C9005C 000381B9
	s_nop 0                                                    // 00000000985C: BF800000
	v_cndmask_b32_e64 v40, v195, v40, s[92:93]                 // 000000009860: D1000028 017251C3
	v_add_u32_e32 v185, 0xc1, v184                             // 000000009868: 697370FF 000000C1
	v_cmp_lt_u32_e64 s[92:93], v185, v192                      // 000000009870: D0C9005C 000381B9
	s_nop 0                                                    // 000000009878: BF800000
	v_cndmask_b32_e64 v41, v195, v41, s[92:93]                 // 00000000987C: D1000029 017253C3
	v_add_u32_e32 v185, 0xc2, v184                             // 000000009884: 697370FF 000000C2
	v_cmp_lt_u32_e64 s[92:93], v185, v192                      // 00000000988C: D0C9005C 000381B9
	s_nop 0                                                    // 000000009894: BF800000
	v_cndmask_b32_e64 v42, v195, v42, s[92:93]                 // 000000009898: D100002A 017255C3
	v_add_u32_e32 v185, 0xc3, v184                             // 0000000098A0: 697370FF 000000C3
	v_cmp_lt_u32_e64 s[92:93], v185, v192                      // 0000000098A8: D0C9005C 000381B9
	s_nop 0                                                    // 0000000098B0: BF800000
	v_cndmask_b32_e64 v43, v195, v43, s[92:93]                 // 0000000098B4: D100002B 017257C3
	v_add_u32_e32 v185, 0, v184                                // 0000000098BC: 69737080
	v_cmp_lt_u32_e64 s[92:93], v185, v193                      // 0000000098C0: D0C9005C 000383B9
	s_nop 0                                                    // 0000000098C8: BF800000
	v_cndmask_b32_e64 v44, v195, v44, s[92:93]                 // 0000000098CC: D100002C 017259C3
	v_add_u32_e32 v185, 1, v184                                // 0000000098D4: 69737081
	v_cmp_lt_u32_e64 s[92:93], v185, v193                      // 0000000098D8: D0C9005C 000383B9
	s_nop 0                                                    // 0000000098E0: BF800000
	v_cndmask_b32_e64 v45, v195, v45, s[92:93]                 // 0000000098E4: D100002D 01725BC3
	v_add_u32_e32 v185, 2, v184                                // 0000000098EC: 69737082
	v_cmp_lt_u32_e64 s[92:93], v185, v193                      // 0000000098F0: D0C9005C 000383B9
	s_nop 0                                                    // 0000000098F8: BF800000
	v_cndmask_b32_e64 v46, v195, v46, s[92:93]                 // 0000000098FC: D100002E 01725DC3
	v_add_u32_e32 v185, 3, v184                                // 000000009904: 69737083
	v_cmp_lt_u32_e64 s[92:93], v185, v193                      // 000000009908: D0C9005C 000383B9
	s_nop 0                                                    // 000000009910: BF800000
	v_cndmask_b32_e64 v47, v195, v47, s[92:93]                 // 000000009914: D100002F 01725FC3
	v_add_u32_e32 v185, 64, v184                               // 00000000991C: 697370C0
	v_cmp_lt_u32_e64 s[92:93], v185, v193                      // 000000009920: D0C9005C 000383B9
	s_nop 0                                                    // 000000009928: BF800000
	v_cndmask_b32_e64 v48, v195, v48, s[92:93]                 // 00000000992C: D1000030 017261C3
	v_add_u32_e32 v185, 0x41, v184                             // 000000009934: 697370FF 00000041
	v_cmp_lt_u32_e64 s[92:93], v185, v193                      // 00000000993C: D0C9005C 000383B9
	s_nop 0                                                    // 000000009944: BF800000
	v_cndmask_b32_e64 v49, v195, v49, s[92:93]                 // 000000009948: D1000031 017263C3
	v_add_u32_e32 v185, 0x42, v184                             // 000000009950: 697370FF 00000042
	v_cmp_lt_u32_e64 s[92:93], v185, v193                      // 000000009958: D0C9005C 000383B9
	s_nop 0                                                    // 000000009960: BF800000
	v_cndmask_b32_e64 v50, v195, v50, s[92:93]                 // 000000009964: D1000032 017265C3
	v_add_u32_e32 v185, 0x43, v184                             // 00000000996C: 697370FF 00000043
	v_cmp_lt_u32_e64 s[92:93], v185, v193                      // 000000009974: D0C9005C 000383B9
	s_nop 0                                                    // 00000000997C: BF800000
	v_cndmask_b32_e64 v51, v195, v51, s[92:93]                 // 000000009980: D1000033 017267C3
	v_add_u32_e32 v185, 0x80, v184                             // 000000009988: 697370FF 00000080
	v_cmp_lt_u32_e64 s[92:93], v185, v193                      // 000000009990: D0C9005C 000383B9
	s_nop 0                                                    // 000000009998: BF800000
	v_cndmask_b32_e64 v52, v195, v52, s[92:93]                 // 00000000999C: D1000034 017269C3
	v_add_u32_e32 v185, 0x81, v184                             // 0000000099A4: 697370FF 00000081
	v_cmp_lt_u32_e64 s[92:93], v185, v193                      // 0000000099AC: D0C9005C 000383B9
	s_nop 0                                                    // 0000000099B4: BF800000
	v_cndmask_b32_e64 v53, v195, v53, s[92:93]                 // 0000000099B8: D1000035 01726BC3
	v_add_u32_e32 v185, 0x82, v184                             // 0000000099C0: 697370FF 00000082
	v_cmp_lt_u32_e64 s[92:93], v185, v193                      // 0000000099C8: D0C9005C 000383B9
	s_nop 0                                                    // 0000000099D0: BF800000
	v_cndmask_b32_e64 v54, v195, v54, s[92:93]                 // 0000000099D4: D1000036 01726DC3
	v_add_u32_e32 v185, 0x83, v184                             // 0000000099DC: 697370FF 00000083
	v_cmp_lt_u32_e64 s[92:93], v185, v193                      // 0000000099E4: D0C9005C 000383B9
	s_nop 0                                                    // 0000000099EC: BF800000
	v_cndmask_b32_e64 v55, v195, v55, s[92:93]                 // 0000000099F0: D1000037 01726FC3
	v_add_u32_e32 v185, 0xc0, v184                             // 0000000099F8: 697370FF 000000C0
	v_cmp_lt_u32_e64 s[92:93], v185, v193                      // 000000009A00: D0C9005C 000383B9
	s_nop 0                                                    // 000000009A08: BF800000
	v_cndmask_b32_e64 v56, v195, v56, s[92:93]                 // 000000009A0C: D1000038 017271C3
	v_add_u32_e32 v185, 0xc1, v184                             // 000000009A14: 697370FF 000000C1
	v_cmp_lt_u32_e64 s[92:93], v185, v193                      // 000000009A1C: D0C9005C 000383B9
	s_nop 0                                                    // 000000009A24: BF800000
	v_cndmask_b32_e64 v57, v195, v57, s[92:93]                 // 000000009A28: D1000039 017273C3
	v_add_u32_e32 v185, 0xc2, v184                             // 000000009A30: 697370FF 000000C2
	v_cmp_lt_u32_e64 s[92:93], v185, v193                      // 000000009A38: D0C9005C 000383B9
	s_nop 0                                                    // 000000009A40: BF800000
	v_cndmask_b32_e64 v58, v195, v58, s[92:93]                 // 000000009A44: D100003A 017275C3
	v_add_u32_e32 v185, 0xc3, v184                             // 000000009A4C: 697370FF 000000C3
	v_cmp_lt_u32_e64 s[92:93], v185, v193                      // 000000009A54: D0C9005C 000383B9
	s_nop 0                                                    // 000000009A5C: BF800000
	v_cndmask_b32_e64 v59, v195, v59, s[92:93]                 // 000000009A60: D100003B 017277C3
	v_mov_b32_e32 v148, v28                                    // 000000009A68: 7F28031C
	v_max3_f32 v148, v28, v29, v148                            // 000000009A6C: D1D30094 06523B1C
	v_max3_f32 v148, v30, v31, v148                            // 000000009A74: D1D30094 06523F1E
	v_max3_f32 v148, v32, v33, v148                            // 000000009A7C: D1D30094 06524320
	v_max3_f32 v148, v34, v35, v148                            // 000000009A84: D1D30094 06524722
	v_max3_f32 v148, v36, v37, v148                            // 000000009A8C: D1D30094 06524B24
	v_max3_f32 v148, v38, v39, v148                            // 000000009A94: D1D30094 06524F26
	v_max3_f32 v148, v40, v41, v148                            // 000000009A9C: D1D30094 06525328
	v_max3_f32 v148, v42, v43, v148                            // 000000009AA4: D1D30094 0652572A
	v_mov_b32_e32 v149, v44                                    // 000000009AAC: 7F2A032C
	v_max3_f32 v149, v44, v45, v149                            // 000000009AB0: D1D30095 06565B2C
	v_max3_f32 v149, v46, v47, v149                            // 000000009AB8: D1D30095 06565F2E
	v_max3_f32 v149, v48, v49, v149                            // 000000009AC0: D1D30095 06566330
	v_max3_f32 v149, v50, v51, v149                            // 000000009AC8: D1D30095 06566732
	v_max3_f32 v149, v52, v53, v149                            // 000000009AD0: D1D30095 06566B34
	v_max3_f32 v149, v54, v55, v149                            // 000000009AD8: D1D30095 06566F36
	v_max3_f32 v149, v56, v57, v149                            // 000000009AE0: D1D30095 06567338
	v_max3_f32 v149, v58, v59, v149                            // 000000009AE8: D1D30095 0656773A
	ds_write_b64 v214, v[148:149]                              // 000000009AF0: D89A0000 000094D6
	v_pk_mul_f32 v[108:109], v[140:141], v[108:109]            // 000000009AF8: D3B1406C 1802D98C
	v_pk_mul_f32 v[110:111], v[140:141], v[110:111]            // 000000009B00: D3B1406E 1802DD8C
	v_pk_mul_f32 v[112:113], v[140:141], v[112:113]            // 000000009B08: D3B14070 1802E18C
	v_pk_mul_f32 v[114:115], v[140:141], v[114:115]            // 000000009B10: D3B14072 1802E58C
	v_pk_mul_f32 v[116:117], v[142:143], v[116:117]            // 000000009B18: D3B14074 1802E98E
	v_pk_mul_f32 v[118:119], v[142:143], v[118:119]            // 000000009B20: D3B14076 1802ED8E
	v_pk_mul_f32 v[120:121], v[142:143], v[120:121]            // 000000009B28: D3B14078 1802F18E
	v_pk_mul_f32 v[122:123], v[142:143], v[122:123]            // 000000009B30: D3B1407A 1802F58E
	s_waitcnt lgkmcnt(0)                                       // 000000009B38: BF8CC07F
	s_barrier                                                  // 000000009B3C: BF8A0000
	ds_read_b64 v[152:153], v215                               // 000000009B40: D8EC0000 980000D7
	ds_read_b64 v[154:155], v215 offset:128                    // 000000009B48: D8EC0080 9A0000D7
	ds_read_b64 v[156:157], v215 offset:256                    // 000000009B50: D8EC0100 9C0000D7
	ds_read_b64 v[158:159], v215 offset:384                    // 000000009B58: D8EC0180 9E0000D7
	ds_read_b64 v[160:161], v215 offset:512                    // 000000009B60: D8EC0200 A00000D7
	ds_read_b64 v[162:163], v215 offset:640                    // 000000009B68: D8EC0280 A20000D7
	ds_read_b64 v[164:165], v215 offset:768                    // 000000009B70: D8EC0300 A40000D7
	ds_read_b64 v[166:167], v215 offset:896                    // 000000009B78: D8EC0380 A60000D7
	ds_read_b64 v[168:169], v215 offset:1024                   // 000000009B80: D8EC0400 A80000D7
	ds_read_b64 v[170:171], v215 offset:1152                   // 000000009B88: D8EC0480 AA0000D7
	ds_read_b64 v[172:173], v215 offset:1280                   // 000000009B90: D8EC0500 AC0000D7
	ds_read_b64 v[174:175], v215 offset:1408                   // 000000009B98: D8EC0580 AE0000D7
	ds_read_b64 v[176:177], v215 offset:1536                   // 000000009BA0: D8EC0600 B00000D7
	ds_read_b64 v[178:179], v215 offset:1664                   // 000000009BA8: D8EC0680 B20000D7
	ds_read_b64 v[180:181], v215 offset:1792                   // 000000009BB0: D8EC0700 B40000D7
	ds_read_b64 v[182:183], v215 offset:1920                   // 000000009BB8: D8EC0780 B60000D7
	v_pk_mul_f32 v[92:93], v[132:133], v[92:93]                // 000000009BC0: D3B1405C 1802B984
	v_pk_mul_f32 v[94:95], v[132:133], v[94:95]                // 000000009BC8: D3B1405E 1802BD84
	v_pk_mul_f32 v[96:97], v[132:133], v[96:97]                // 000000009BD0: D3B14060 1802C184
	v_pk_mul_f32 v[98:99], v[132:133], v[98:99]                // 000000009BD8: D3B14062 1802C584
	v_pk_mul_f32 v[100:101], v[134:135], v[100:101]            // 000000009BE0: D3B14064 1802C986
	v_pk_mul_f32 v[102:103], v[134:135], v[102:103]            // 000000009BE8: D3B14066 1802CD86
	v_pk_mul_f32 v[104:105], v[134:135], v[104:105]            // 000000009BF0: D3B14068 1802D186
	v_pk_mul_f32 v[106:107], v[134:135], v[106:107]            // 000000009BF8: D3B1406A 1802D586
	s_waitcnt lgkmcnt(0)                                       // 000000009C00: BF8CC07F
	v_max3_f32 v148, v152, v154, v148                          // 000000009C04: D1D30094 06533598
	v_max3_f32 v149, v153, v155, v149                          // 000000009C0C: D1D30095 06573799
	v_max3_f32 v148, v156, v158, v148                          // 000000009C14: D1D30094 06533D9C
	v_max3_f32 v149, v157, v159, v149                          // 000000009C1C: D1D30095 06573F9D
	v_max3_f32 v148, v160, v162, v148                          // 000000009C24: D1D30094 065345A0
	v_max3_f32 v149, v161, v163, v149                          // 000000009C2C: D1D30095 065747A1
	v_max3_f32 v148, v164, v166, v148                          // 000000009C34: D1D30094 06534DA4
	v_max3_f32 v149, v165, v167, v149                          // 000000009C3C: D1D30095 06574FA5
	v_max3_f32 v148, v168, v170, v148                          // 000000009C44: D1D30094 065355A8
	v_max3_f32 v149, v169, v171, v149                          // 000000009C4C: D1D30095 065757A9
	v_max3_f32 v148, v172, v174, v148                          // 000000009C54: D1D30094 06535DAC
	v_max3_f32 v149, v173, v175, v149                          // 000000009C5C: D1D30095 06575FAD
	v_max3_f32 v148, v176, v178, v148                          // 000000009C64: D1D30094 065365B0
	v_max3_f32 v149, v177, v179, v149                          // 000000009C6C: D1D30095 065767B1
	v_max3_f32 v148, v180, v182, v148                          // 000000009C74: D1D30094 06536DB4
	v_max3_f32 v149, v181, v183, v149                          // 000000009C7C: D1D30095 06576FB5
	v_max_f32_e32 v138, v148, v136                             // 000000009C84: 17151194
	v_mul_f32_e64 v184, -s51, v138                             // 000000009C88: D10500B8 20031433
	v_mov_b32_e32 v185, v184                                   // 000000009C90: 7F7203B8
	v_pk_fma_f32 v[28:29], v[28:29], s[68:69], v[184:185]      // 000000009C94: D3B0401C 1EE0891C
	v_pk_fma_f32 v[30:31], v[30:31], s[68:69], v[184:185]      // 000000009C9C: D3B0401E 1EE0891E
	v_exp_f32_e32 v28, v28                                     // 000000009CA4: 7E38411C
	v_exp_f32_e32 v29, v29                                     // 000000009CA8: 7E3A411D
	v_exp_f32_e32 v30, v30                                     // 000000009CAC: 7E3C411E
	v_exp_f32_e32 v31, v31                                     // 000000009CB0: 7E3E411F
	v_pk_fma_f32 v[32:33], v[32:33], s[68:69], v[184:185]      // 000000009CB4: D3B04020 1EE08920
	v_pk_fma_f32 v[34:35], v[34:35], s[68:69], v[184:185]      // 000000009CBC: D3B04022 1EE08922
	v_exp_f32_e32 v32, v32                                     // 000000009CC4: 7E404120
	v_exp_f32_e32 v33, v33                                     // 000000009CC8: 7E424121
	v_exp_f32_e32 v34, v34                                     // 000000009CCC: 7E444122
	v_exp_f32_e32 v35, v35                                     // 000000009CD0: 7E464123
	v_pk_fma_f32 v[36:37], v[36:37], s[68:69], v[184:185]      // 000000009CD4: D3B04024 1EE08924
	v_pk_fma_f32 v[38:39], v[38:39], s[68:69], v[184:185]      // 000000009CDC: D3B04026 1EE08926
	v_exp_f32_e32 v36, v36                                     // 000000009CE4: 7E484124
	v_exp_f32_e32 v37, v37                                     // 000000009CE8: 7E4A4125
	v_exp_f32_e32 v38, v38                                     // 000000009CEC: 7E4C4126
	v_exp_f32_e32 v39, v39                                     // 000000009CF0: 7E4E4127
	v_pk_fma_f32 v[40:41], v[40:41], s[68:69], v[184:185]      // 000000009CF4: D3B04028 1EE08928
	v_pk_fma_f32 v[42:43], v[42:43], s[68:69], v[184:185]      // 000000009CFC: D3B0402A 1EE0892A
	v_exp_f32_e32 v40, v40                                     // 000000009D04: 7E504128
	v_exp_f32_e32 v41, v41                                     // 000000009D08: 7E524129
	v_exp_f32_e32 v42, v42                                     // 000000009D0C: 7E54412A
	v_exp_f32_e32 v43, v43                                     // 000000009D10: 7E56412B
	v_max_f32_e32 v139, v149, v137                             // 000000009D14: 17171395
	v_mul_f32_e64 v184, -s51, v139                             // 000000009D18: D10500B8 20031633
	v_mov_b32_e32 v185, v184                                   // 000000009D20: 7F7203B8
	v_pk_fma_f32 v[44:45], v[44:45], s[68:69], v[184:185]      // 000000009D24: D3B0402C 1EE0892C
	v_pk_fma_f32 v[46:47], v[46:47], s[68:69], v[184:185]      // 000000009D2C: D3B0402E 1EE0892E
	v_exp_f32_e32 v44, v44                                     // 000000009D34: 7E58412C
	v_exp_f32_e32 v45, v45                                     // 000000009D38: 7E5A412D
	v_exp_f32_e32 v46, v46                                     // 000000009D3C: 7E5C412E
	v_exp_f32_e32 v47, v47                                     // 000000009D40: 7E5E412F
	v_pk_fma_f32 v[48:49], v[48:49], s[68:69], v[184:185]      // 000000009D44: D3B04030 1EE08930
	v_pk_fma_f32 v[50:51], v[50:51], s[68:69], v[184:185]      // 000000009D4C: D3B04032 1EE08932
	v_exp_f32_e32 v48, v48                                     // 000000009D54: 7E604130
	v_exp_f32_e32 v49, v49                                     // 000000009D58: 7E624131
	v_exp_f32_e32 v50, v50                                     // 000000009D5C: 7E644132
	v_exp_f32_e32 v51, v51                                     // 000000009D60: 7E664133
	v_pk_fma_f32 v[52:53], v[52:53], s[68:69], v[184:185]      // 000000009D64: D3B04034 1EE08934
	v_pk_fma_f32 v[54:55], v[54:55], s[68:69], v[184:185]      // 000000009D6C: D3B04036 1EE08936
	v_exp_f32_e32 v52, v52                                     // 000000009D74: 7E684134
	v_exp_f32_e32 v53, v53                                     // 000000009D78: 7E6A4135
	v_exp_f32_e32 v54, v54                                     // 000000009D7C: 7E6C4136
	v_exp_f32_e32 v55, v55                                     // 000000009D80: 7E6E4137
	v_pk_fma_f32 v[56:57], v[56:57], s[68:69], v[184:185]      // 000000009D84: D3B04038 1EE08938
	v_pk_fma_f32 v[58:59], v[58:59], s[68:69], v[184:185]      // 000000009D8C: D3B0403A 1EE0893A
	v_exp_f32_e32 v56, v56                                     // 000000009D94: 7E704138
	v_exp_f32_e32 v57, v57                                     // 000000009D98: 7E724139
	v_exp_f32_e32 v58, v58                                     // 000000009D9C: 7E74413A
	v_exp_f32_e32 v59, v59                                     // 000000009DA0: 7E76413B
	v_mul_f32_dpp v60, v130, v28 row_newbcast:0 row_mask:0xf bank_mask:0xf// 000000009DA4: 0A7838FA FF015082
	v_mul_f32_dpp v61, v130, v29 row_newbcast:1 row_mask:0xf bank_mask:0xf// 000000009DAC: 0A7A3AFA FF015182
	v_mul_f32_dpp v62, v130, v30 row_newbcast:2 row_mask:0xf bank_mask:0xf// 000000009DB4: 0A7C3CFA FF015282
	v_mul_f32_dpp v63, v130, v31 row_newbcast:3 row_mask:0xf bank_mask:0xf// 000000009DBC: 0A7E3EFA FF015382
	v_mul_f32_dpp v64, v130, v32 row_newbcast:4 row_mask:0xf bank_mask:0xf// 000000009DC4: 0A8040FA FF015482
	v_mul_f32_dpp v65, v130, v33 row_newbcast:5 row_mask:0xf bank_mask:0xf// 000000009DCC: 0A8242FA FF015582
	v_mul_f32_dpp v66, v130, v34 row_newbcast:6 row_mask:0xf bank_mask:0xf// 000000009DD4: 0A8444FA FF015682
	v_mul_f32_dpp v67, v130, v35 row_newbcast:7 row_mask:0xf bank_mask:0xf// 000000009DDC: 0A8646FA FF015782
	v_mul_f32_dpp v68, v130, v36 row_newbcast:8 row_mask:0xf bank_mask:0xf// 000000009DE4: 0A8848FA FF015882
	v_mul_f32_dpp v69, v130, v37 row_newbcast:9 row_mask:0xf bank_mask:0xf// 000000009DEC: 0A8A4AFA FF015982
	v_mul_f32_dpp v70, v130, v38 row_newbcast:10 row_mask:0xf bank_mask:0xf// 000000009DF4: 0A8C4CFA FF015A82
	v_mul_f32_dpp v71, v130, v39 row_newbcast:11 row_mask:0xf bank_mask:0xf// 000000009DFC: 0A8E4EFA FF015B82
	v_mul_f32_dpp v72, v130, v40 row_newbcast:12 row_mask:0xf bank_mask:0xf// 000000009E04: 0A9050FA FF015C82
	v_mul_f32_dpp v73, v130, v41 row_newbcast:13 row_mask:0xf bank_mask:0xf// 000000009E0C: 0A9252FA FF015D82
	v_mul_f32_dpp v74, v130, v42 row_newbcast:14 row_mask:0xf bank_mask:0xf// 000000009E14: 0A9454FA FF015E82
	v_mul_f32_dpp v75, v130, v43 row_newbcast:15 row_mask:0xf bank_mask:0xf// 000000009E1C: 0A9656FA FF015F82
	v_mul_f32_dpp v76, v130, v44 row_newbcast:0 row_mask:0xf bank_mask:0xf// 000000009E24: 0A9858FA FF015082
	v_mul_f32_dpp v77, v130, v45 row_newbcast:1 row_mask:0xf bank_mask:0xf// 000000009E2C: 0A9A5AFA FF015182
	v_mul_f32_dpp v78, v130, v46 row_newbcast:2 row_mask:0xf bank_mask:0xf// 000000009E34: 0A9C5CFA FF015282
	v_mul_f32_dpp v79, v130, v47 row_newbcast:3 row_mask:0xf bank_mask:0xf// 000000009E3C: 0A9E5EFA FF015382
	v_mul_f32_dpp v80, v130, v48 row_newbcast:4 row_mask:0xf bank_mask:0xf// 000000009E44: 0AA060FA FF015482
	v_mul_f32_dpp v81, v130, v49 row_newbcast:5 row_mask:0xf bank_mask:0xf// 000000009E4C: 0AA262FA FF015582
	v_mul_f32_dpp v82, v130, v50 row_newbcast:6 row_mask:0xf bank_mask:0xf// 000000009E54: 0AA464FA FF015682
	v_mul_f32_dpp v83, v130, v51 row_newbcast:7 row_mask:0xf bank_mask:0xf// 000000009E5C: 0AA666FA FF015782
	v_mul_f32_dpp v84, v130, v52 row_newbcast:8 row_mask:0xf bank_mask:0xf// 000000009E64: 0AA868FA FF015882
	v_mul_f32_dpp v85, v130, v53 row_newbcast:9 row_mask:0xf bank_mask:0xf// 000000009E6C: 0AAA6AFA FF015982
	v_mul_f32_dpp v86, v130, v54 row_newbcast:10 row_mask:0xf bank_mask:0xf// 000000009E74: 0AAC6CFA FF015A82
	v_mul_f32_dpp v87, v130, v55 row_newbcast:11 row_mask:0xf bank_mask:0xf// 000000009E7C: 0AAE6EFA FF015B82
	v_mul_f32_dpp v88, v130, v56 row_newbcast:12 row_mask:0xf bank_mask:0xf// 000000009E84: 0AB070FA FF015C82
	v_mul_f32_dpp v89, v130, v57 row_newbcast:13 row_mask:0xf bank_mask:0xf// 000000009E8C: 0AB272FA FF015D82
	v_mul_f32_dpp v90, v130, v58 row_newbcast:14 row_mask:0xf bank_mask:0xf// 000000009E94: 0AB474FA FF015E82
	v_mul_f32_dpp v91, v130, v59 row_newbcast:15 row_mask:0xf bank_mask:0xf// 000000009E9C: 0AB676FA FF015F82
	v_mov_b32_e32 v148, 0x358637bd                             // 000000009EA4: 7F2802FF 358637BD
	v_max3_f32 v148, |v60|, |v61|, v148                        // 000000009EAC: D1D30394 06527B3C
	v_max3_f32 v148, |v62|, |v63|, v148                        // 000000009EB4: D1D30394 06527F3E
	v_max3_f32 v148, |v64|, |v65|, v148                        // 000000009EBC: D1D30394 06528340
	v_max3_f32 v148, |v66|, |v67|, v148                        // 000000009EC4: D1D30394 06528742
	v_max3_f32 v148, |v68|, |v69|, v148                        // 000000009ECC: D1D30394 06528B44
	v_max3_f32 v148, |v70|, |v71|, v148                        // 000000009ED4: D1D30394 06528F46
	v_max3_f32 v148, |v72|, |v73|, v148                        // 000000009EDC: D1D30394 06529348
	v_max3_f32 v148, |v74|, |v75|, v148                        // 000000009EE4: D1D30394 0652974A
	v_mov_b32_e32 v149, 0x358637bd                             // 000000009EEC: 7F2A02FF 358637BD
	v_max3_f32 v149, |v76|, |v77|, v149                        // 000000009EF4: D1D30395 06569B4C
	v_max3_f32 v149, |v78|, |v79|, v149                        // 000000009EFC: D1D30395 06569F4E
	v_max3_f32 v149, |v80|, |v81|, v149                        // 000000009F04: D1D30395 0656A350
	v_max3_f32 v149, |v82|, |v83|, v149                        // 000000009F0C: D1D30395 0656A752
	v_max3_f32 v149, |v84|, |v85|, v149                        // 000000009F14: D1D30395 0656AB54
	v_max3_f32 v149, |v86|, |v87|, v149                        // 000000009F1C: D1D30395 0656AF56
	v_max3_f32 v149, |v88|, |v89|, v149                        // 000000009F24: D1D30395 0656B358
	v_max3_f32 v149, |v90|, |v91|, v149                        // 000000009F2C: D1D30395 0656B75A
	ds_write_b64 v214, v[148:149] offset:2304                  // 000000009F34: D89A0900 000094D6
	buffer_load_dword v129, v206, s[28:31], 0 offen            // 000000009F3C: E0501000 800781CE
	v_sub_f32_e32 v140, v136, v138                             // 000000009F44: 05191588
	v_cmp_eq_u32_e64 s[92:93], v195, v136                      // 000000009F48: D0CA005C 000311C3
	s_nop 0                                                    // 000000009F50: BF800000
	v_cndmask_b32_e64 v140, v140, 0, s[92:93]                  // 000000009F54: D100008C 0171018C
	v_mov_b32_e32 v136, v138                                   // 000000009F5C: 7F10038A
	v_mul_f32_e32 v140, s51, v140                              // 000000009F60: 0B191833
	v_exp_f32_e32 v140, v140                                   // 000000009F64: 7F18418C
	v_sub_f32_e32 v142, v137, v139                             // 000000009F68: 051D1789
	v_cmp_eq_u32_e64 s[92:93], v195, v137                      // 000000009F6C: D0CA005C 000313C3
	s_nop 0                                                    // 000000009F74: BF800000
	v_cndmask_b32_e64 v142, v142, 0, s[92:93]                  // 000000009F78: D100008E 0171018E
	v_mov_b32_e32 v137, v139                                   // 000000009F80: 7F12038B
	v_mul_f32_e32 v142, s51, v142                              // 000000009F84: 0B1D1C33
	v_exp_f32_e32 v142, v142                                   // 000000009F88: 7F1C418E
	v_mov_b32_e32 v141, v140                                   // 000000009F8C: 7F1A038C
	v_mov_b32_e32 v143, v142                                   // 000000009F90: 7F1E038E
	buffer_load_dword v131, v207, s[32:35], 0 offen            // 000000009F94: E0501000 800883CF
	s_waitcnt lgkmcnt(0)                                       // 000000009F9C: BF8CC07F
	s_barrier                                                  // 000000009FA0: BF8A0000
	ds_read_b64 v[152:153], v215 offset:2304                   // 000000009FA4: D8EC0900 980000D7
	ds_read_b64 v[154:155], v215 offset:2432                   // 000000009FAC: D8EC0980 9A0000D7
	ds_read_b64 v[156:157], v215 offset:2560                   // 000000009FB4: D8EC0A00 9C0000D7
	ds_read_b64 v[158:159], v215 offset:2688                   // 000000009FBC: D8EC0A80 9E0000D7
	ds_read_b64 v[160:161], v215 offset:2816                   // 000000009FC4: D8EC0B00 A00000D7
	ds_read_b64 v[162:163], v215 offset:2944                   // 000000009FCC: D8EC0B80 A20000D7
	ds_read_b64 v[164:165], v215 offset:3072                   // 000000009FD4: D8EC0C00 A40000D7
	ds_read_b64 v[166:167], v215 offset:3200                   // 000000009FDC: D8EC0C80 A60000D7
	ds_read_b64 v[168:169], v215 offset:3328                   // 000000009FE4: D8EC0D00 A80000D7
	ds_read_b64 v[170:171], v215 offset:3456                   // 000000009FEC: D8EC0D80 AA0000D7
	ds_read_b64 v[172:173], v215 offset:3584                   // 000000009FF4: D8EC0E00 AC0000D7
	ds_read_b64 v[174:175], v215 offset:3712                   // 000000009FFC: D8EC0E80 AE0000D7
	ds_read_b64 v[176:177], v215 offset:3840                   // 00000000A004: D8EC0F00 B00000D7
	ds_read_b64 v[178:179], v215 offset:3968                   // 00000000A00C: D8EC0F80 B20000D7
	ds_read_b64 v[180:181], v215 offset:4096                   // 00000000A014: D8EC1000 B40000D7
	ds_read_b64 v[182:183], v215 offset:4224                   // 00000000A01C: D8EC1080 B60000D7
	v_mul_f32_e32 v144, v140, v144                             // 00000000A024: 0B21218C
	v_add_f32_e32 v144, v28, v144                              // 00000000A028: 0321211C
	v_add_f32_e32 v144, v29, v144                              // 00000000A02C: 0321211D
	v_add_f32_e32 v144, v30, v144                              // 00000000A030: 0321211E
	v_add_f32_e32 v144, v31, v144                              // 00000000A034: 0321211F
	v_add_f32_e32 v144, v32, v144                              // 00000000A038: 03212120
	v_add_f32_e32 v144, v33, v144                              // 00000000A03C: 03212121
	v_add_f32_e32 v144, v34, v144                              // 00000000A040: 03212122
	v_add_f32_e32 v144, v35, v144                              // 00000000A044: 03212123
	v_add_f32_e32 v144, v36, v144                              // 00000000A048: 03212124
	v_add_f32_e32 v144, v37, v144                              // 00000000A04C: 03212125
	v_add_f32_e32 v144, v38, v144                              // 00000000A050: 03212126
	v_add_f32_e32 v144, v39, v144                              // 00000000A054: 03212127
	v_add_f32_e32 v144, v40, v144                              // 00000000A058: 03212128
	v_add_f32_e32 v144, v41, v144                              // 00000000A05C: 03212129
	v_add_f32_e32 v144, v42, v144                              // 00000000A060: 0321212A
	v_add_f32_e32 v144, v43, v144                              // 00000000A064: 0321212B
	v_mul_f32_e32 v145, v142, v145                             // 00000000A068: 0B23238E
	v_add_f32_e32 v145, v44, v145                              // 00000000A06C: 0323232C
	v_add_f32_e32 v145, v45, v145                              // 00000000A070: 0323232D
	v_add_f32_e32 v145, v46, v145                              // 00000000A074: 0323232E
	v_add_f32_e32 v145, v47, v145                              // 00000000A078: 0323232F
	v_add_f32_e32 v145, v48, v145                              // 00000000A07C: 03232330
	v_add_f32_e32 v145, v49, v145                              // 00000000A080: 03232331
	v_add_f32_e32 v145, v50, v145                              // 00000000A084: 03232332
	v_add_f32_e32 v145, v51, v145                              // 00000000A088: 03232333
	v_add_f32_e32 v145, v52, v145                              // 00000000A08C: 03232334
	v_add_f32_e32 v145, v53, v145                              // 00000000A090: 03232335
	v_add_f32_e32 v145, v54, v145                              // 00000000A094: 03232336
	v_add_f32_e32 v145, v55, v145                              // 00000000A098: 03232337
	v_add_f32_e32 v145, v56, v145                              // 00000000A09C: 03232338
	v_add_f32_e32 v145, v57, v145                              // 00000000A0A0: 03232339
	v_add_f32_e32 v145, v58, v145                              // 00000000A0A4: 0323233A
	v_add_f32_e32 v145, v59, v145                              // 00000000A0A8: 0323233B
	s_waitcnt lgkmcnt(0)                                       // 00000000A0AC: BF8CC07F
	v_max3_f32 v148, v152, v154, v148                          // 00000000A0B0: D1D30094 06533598
	v_max3_f32 v149, v153, v155, v149                          // 00000000A0B8: D1D30095 06573799
	v_max3_f32 v148, v156, v158, v148                          // 00000000A0C0: D1D30094 06533D9C
	v_max3_f32 v149, v157, v159, v149                          // 00000000A0C8: D1D30095 06573F9D
	v_max3_f32 v148, v160, v162, v148                          // 00000000A0D0: D1D30094 065345A0
	v_max3_f32 v149, v161, v163, v149                          // 00000000A0D8: D1D30095 065747A1
	v_max3_f32 v148, v164, v166, v148                          // 00000000A0E0: D1D30094 06534DA4
	v_max3_f32 v149, v165, v167, v149                          // 00000000A0E8: D1D30095 06574FA5
	v_max3_f32 v148, v168, v170, v148                          // 00000000A0F0: D1D30094 065355A8
	v_max3_f32 v149, v169, v171, v149                          // 00000000A0F8: D1D30095 065757A9
	v_max3_f32 v148, v172, v174, v148                          // 00000000A100: D1D30094 06535DAC
	v_max3_f32 v149, v173, v175, v149                          // 00000000A108: D1D30095 06575FAD
	v_max3_f32 v148, v176, v178, v148                          // 00000000A110: D1D30094 065365B0
	v_max3_f32 v149, v177, v179, v149                          // 00000000A118: D1D30095 065767B1
	v_max3_f32 v148, v180, v182, v148                          // 00000000A120: D1D30094 06536DB4
	v_max3_f32 v149, v181, v183, v149                          // 00000000A128: D1D30095 06576FB5
	v_rcp_f32_e32 v148, v148                                   // 00000000A130: 7F284594
	v_rcp_f32_e32 v149, v149                                   // 00000000A134: 7F2A4595
	v_mul_f32_e32 v148, 0x43700000, v148                       // 00000000A138: 0B2928FF 43700000
	v_mul_f32_e32 v149, 0x43700000, v149                       // 00000000A140: 0B2B2AFF 43700000
	v_mov_b32_e32 v150, v149                                   // 00000000A148: 7F2C0395
	v_mov_b32_e32 v151, v149                                   // 00000000A14C: 7F2E0395
	v_mov_b32_e32 v149, v148                                   // 00000000A150: 7F2A0394
	v_pk_mul_f32 v[28:29], v[148:149], v[60:61]                // 00000000A154: D3B1401C 18027994
	v_pk_mul_f32 v[30:31], v[148:149], v[62:63]                // 00000000A15C: D3B1401E 18027D94
	v_pk_mul_f32 v[32:33], v[148:149], v[64:65]                // 00000000A164: D3B14020 18028194
	v_pk_mul_f32 v[34:35], v[148:149], v[66:67]                // 00000000A16C: D3B14022 18028594
	v_pk_mul_f32 v[36:37], v[148:149], v[68:69]                // 00000000A174: D3B14024 18028994
	v_pk_mul_f32 v[38:39], v[148:149], v[70:71]                // 00000000A17C: D3B14026 18028D94
	v_pk_mul_f32 v[40:41], v[148:149], v[72:73]                // 00000000A184: D3B14028 18029194
	v_pk_mul_f32 v[42:43], v[148:149], v[74:75]                // 00000000A18C: D3B1402A 18029594
	v_pk_mul_f32 v[44:45], v[150:151], v[76:77]                // 00000000A194: D3B1402C 18029996
	v_pk_mul_f32 v[46:47], v[150:151], v[78:79]                // 00000000A19C: D3B1402E 18029D96
	v_pk_mul_f32 v[48:49], v[150:151], v[80:81]                // 00000000A1A4: D3B14030 1802A196
	v_pk_mul_f32 v[50:51], v[150:151], v[82:83]                // 00000000A1AC: D3B14032 1802A596
	v_pk_mul_f32 v[52:53], v[150:151], v[84:85]                // 00000000A1B4: D3B14034 1802A996
	v_pk_mul_f32 v[54:55], v[150:151], v[86:87]                // 00000000A1BC: D3B14036 1802AD96
	v_pk_mul_f32 v[56:57], v[150:151], v[88:89]                // 00000000A1C4: D3B14038 1802B196
	v_pk_mul_f32 v[58:59], v[150:151], v[90:91]                // 00000000A1CC: D3B1403A 1802B596
	v_cvt_pk_fp8_f32 v28, v28, v29                             // 00000000A1D4: D2A2001C 00023B1C
	v_cvt_pk_fp8_f32 v28, v30, v31 op_sel:[0,0,1]              // 00000000A1DC: D2A2401C 00023F1E
	v_cvt_pk_fp8_f32 v29, v32, v33                             // 00000000A1E4: D2A2001D 00024320
	v_cvt_pk_fp8_f32 v29, v34, v35 op_sel:[0,0,1]              // 00000000A1EC: D2A2401D 00024722
	v_cvt_pk_fp8_f32 v30, v36, v37                             // 00000000A1F4: D2A2001E 00024B24
	v_cvt_pk_fp8_f32 v30, v38, v39 op_sel:[0,0,1]              // 00000000A1FC: D2A2401E 00024F26
	v_cvt_pk_fp8_f32 v31, v40, v41                             // 00000000A204: D2A2001F 00025328
	v_cvt_pk_fp8_f32 v31, v42, v43 op_sel:[0,0,1]              // 00000000A20C: D2A2401F 0002572A
	v_cvt_pk_fp8_f32 v32, v44, v45                             // 00000000A214: D2A20020 00025B2C
	v_cvt_pk_fp8_f32 v32, v46, v47 op_sel:[0,0,1]              // 00000000A21C: D2A24020 00025F2E
	v_cvt_pk_fp8_f32 v33, v48, v49                             // 00000000A224: D2A20021 00026330
	v_cvt_pk_fp8_f32 v33, v50, v51 op_sel:[0,0,1]              // 00000000A22C: D2A24021 00026732
	v_cvt_pk_fp8_f32 v34, v52, v53                             // 00000000A234: D2A20022 00026B34
	v_cvt_pk_fp8_f32 v34, v54, v55 op_sel:[0,0,1]              // 00000000A23C: D2A24022 00026F36
	v_cvt_pk_fp8_f32 v35, v56, v57                             // 00000000A244: D2A20023 00027338
	v_cvt_pk_fp8_f32 v35, v58, v59 op_sel:[0,0,1]              // 00000000A24C: D2A24023 0002773A
	ds_write_b32 v216, v28 offset:4608                         // 00000000A254: D81A1200 00001CD8
	ds_write_b32 v216, v29 offset:5632                         // 00000000A25C: D81A1600 00001DD8
	ds_write_b32 v216, v30 offset:6656                         // 00000000A264: D81A1A00 00001ED8
	ds_write_b32 v216, v31 offset:7680                         // 00000000A26C: D81A1E00 00001FD8
	ds_write_b32 v216, v32 offset:8704                         // 00000000A274: D81A2200 000020D8
	ds_write_b32 v216, v33 offset:9728                         // 00000000A27C: D81A2600 000021D8
	ds_write_b32 v216, v34 offset:10752                        // 00000000A284: D81A2A00 000022D8
	ds_write_b32 v216, v35 offset:11776                        // 00000000A28C: D81A2E00 000023D8
	v_rcp_f32_e32 v132, v148                                   // 00000000A294: 7F084594
	v_rcp_f32_e32 v134, v150                                   // 00000000A298: 7F0C4596
	v_mov_b32_e32 v133, v132                                   // 00000000A29C: 7F0A0384
	v_mov_b32_e32 v135, v134                                   // 00000000A2A0: 7F0E0386
	v_pk_add_f32 v[108:109], v[108:109], v[92:93]              // 00000000A2A4: D3B2406C 1802B96C
	v_pk_add_f32 v[110:111], v[110:111], v[94:95]              // 00000000A2AC: D3B2406E 1802BD6E
	v_pk_add_f32 v[112:113], v[112:113], v[96:97]              // 00000000A2B4: D3B24070 1802C170
	v_pk_add_f32 v[114:115], v[114:115], v[98:99]              // 00000000A2BC: D3B24072 1802C572
	v_pk_add_f32 v[116:117], v[116:117], v[100:101]            // 00000000A2C4: D3B24074 1802C974
	v_pk_add_f32 v[118:119], v[118:119], v[102:103]            // 00000000A2CC: D3B24076 1802CD76
	v_pk_add_f32 v[120:121], v[120:121], v[104:105]            // 00000000A2D4: D3B24078 1802D178
	v_pk_add_f32 v[122:123], v[122:123], v[106:107]            // 00000000A2DC: D3B2407A 1802D57A
	s_waitcnt lgkmcnt(0)                                       // 00000000A2E4: BF8CC07F
	s_barrier                                                  // 00000000A2E8: BF8A0000
	ds_read_b128 v[28:31], v217 offset:4608                    // 00000000A2EC: D9FE1200 1C0000D9
	ds_read_b128 v[32:35], v217 offset:5632                    // 00000000A2F4: D9FE1600 200000D9
	ds_read_b128 v[36:39], v217 offset:6656                    // 00000000A2FC: D9FE1A00 240000D9
	ds_read_b128 v[40:43], v217 offset:7680                    // 00000000A304: D9FE1E00 280000D9
	ds_read_b128 v[44:47], v217 offset:8704                    // 00000000A30C: D9FE2200 2C0000D9
	ds_read_b128 v[48:51], v217 offset:9728                    // 00000000A314: D9FE2600 300000D9
	ds_read_b128 v[52:55], v217 offset:10752                   // 00000000A31C: D9FE2A00 340000D9
	ds_read_b128 v[56:59], v217 offset:11776                   // 00000000A324: D9FE2E00 380000D9
	s_waitcnt vmcnt(10)                                        // 00000000A32C: BF8C0F7A
	s_waitcnt lgkmcnt(7)                                       // 00000000A330: BF8CC77F
	v_mfma_f32_16x16x32_fp8_fp8 v[92:95], a[64:65], v[28:29], 0// 00000000A334: D3F3005C 0A023940
	s_addk_i32 s62, 0x1                                        // 00000000A33C: B73E0001
	v_mfma_f32_16x16x32_fp8_fp8 v[96:99], a[80:81], v[28:29], 0// 00000000A340: D3F30060 0A023950
	s_cmp_lt_u32 s62, s52                                      // 00000000A348: BF0A343E
	s_cselect_b32 s63, 4, 0                                    // 00000000A34C: 853F8084
	v_mfma_f32_16x16x32_fp8_fp8 v[92:95], a[66:67], v[30:31], v[92:95]// 00000000A350: D3F3005C 0D723D42
	buffer_load_dwordx4 a[96:99], v202, s[16:19], 0 offen      // 00000000A358: E05C1000 808460CA
	v_mfma_f32_16x16x32_fp8_fp8 v[96:99], a[82:83], v[30:31], v[96:99]// 00000000A360: D3F30060 0D823D52
	s_add_u32 s20, s20, s63                                    // 00000000A368: 80143F14
	s_addc_u32 s21, s21, 0                                     // 00000000A36C: 82158015
	s_waitcnt lgkmcnt(6)                                       // 00000000A370: BF8CC67F
	v_mfma_f32_16x16x32_fp8_fp8 v[92:95], a[68:69], v[32:33], v[92:95]// 00000000A374: D3F3005C 0D724144
	v_mfma_f32_16x16x32_fp8_fp8 v[96:99], a[84:85], v[32:33], v[96:99]// 00000000A37C: D3F30060 0D824154
	v_mfma_f32_16x16x32_fp8_fp8 v[92:95], a[70:71], v[34:35], v[92:95]// 00000000A384: D3F3005C 0D724546
	buffer_load_dwordx4 a[100:103], v203, s[16:19], 0 offen    // 00000000A38C: E05C1000 808464CB
	v_mfma_f32_16x16x32_fp8_fp8 v[96:99], a[86:87], v[34:35], v[96:99]// 00000000A394: D3F30060 0D824556
	s_waitcnt lgkmcnt(5)                                       // 00000000A39C: BF8CC57F
	v_mfma_f32_16x16x32_fp8_fp8 v[92:95], a[72:73], v[36:37], v[92:95]// 00000000A3A0: D3F3005C 0D724948
	v_mfma_f32_16x16x32_fp8_fp8 v[96:99], a[88:89], v[36:37], v[96:99]// 00000000A3A8: D3F30060 0D824958
	v_mfma_f32_16x16x32_fp8_fp8 v[92:95], a[74:75], v[38:39], v[92:95]// 00000000A3B0: D3F3005C 0D724D4A
	buffer_load_dwordx4 a[104:107], v204, s[16:19], 0 offen    // 00000000A3B8: E05C1000 808468CC
	v_mfma_f32_16x16x32_fp8_fp8 v[96:99], a[90:91], v[38:39], v[96:99]// 00000000A3C0: D3F30060 0D824D5A
	s_waitcnt lgkmcnt(4)                                       // 00000000A3C8: BF8CC47F
	v_mfma_f32_16x16x32_fp8_fp8 v[92:95], a[76:77], v[40:41], v[92:95]// 00000000A3CC: D3F3005C 0D72514C
	v_mfma_f32_16x16x32_fp8_fp8 v[96:99], a[92:93], v[40:41], v[96:99]// 00000000A3D4: D3F30060 0D82515C
	v_mfma_f32_16x16x32_fp8_fp8 v[92:95], a[78:79], v[42:43], v[92:95]// 00000000A3DC: D3F3005C 0D72554E
	buffer_load_dwordx4 a[108:111], v205, s[16:19], 0 offen    // 00000000A3E4: E05C1000 80846CCD
	v_mfma_f32_16x16x32_fp8_fp8 v[96:99], a[94:95], v[42:43], v[96:99]// 00000000A3EC: D3F30060 0D82555E
	s_waitcnt lgkmcnt(3)                                       // 00000000A3F4: BF8CC37F
	v_mfma_f32_16x16x32_fp8_fp8 v[100:103], a[64:65], v[44:45], 0// 00000000A3F8: D3F30064 0A025940
	v_mfma_f32_16x16x32_fp8_fp8 v[104:107], a[80:81], v[44:45], 0// 00000000A400: D3F30068 0A025950
	v_mfma_f32_16x16x32_fp8_fp8 v[100:103], a[66:67], v[46:47], v[100:103]// 00000000A408: D3F30064 0D925D42
	buffer_load_dwordx4 a[112:115], v202, s[16:19], 0 offen offset:1024// 00000000A410: E05C1400 808470CA
	v_mfma_f32_16x16x32_fp8_fp8 v[104:107], a[82:83], v[46:47], v[104:107]// 00000000A418: D3F30068 0DA25D52
	s_waitcnt lgkmcnt(2)                                       // 00000000A420: BF8CC27F
	v_mfma_f32_16x16x32_fp8_fp8 v[100:103], a[68:69], v[48:49], v[100:103]// 00000000A424: D3F30064 0D926144
	v_mfma_f32_16x16x32_fp8_fp8 v[104:107], a[84:85], v[48:49], v[104:107]// 00000000A42C: D3F30068 0DA26154
	v_mfma_f32_16x16x32_fp8_fp8 v[100:103], a[70:71], v[50:51], v[100:103]// 00000000A434: D3F30064 0D926546
	buffer_load_dwordx4 a[116:119], v203, s[16:19], 0 offen offset:1024// 00000000A43C: E05C1400 808474CB
	v_mfma_f32_16x16x32_fp8_fp8 v[104:107], a[86:87], v[50:51], v[104:107]// 00000000A444: D3F30068 0DA26556
	s_waitcnt lgkmcnt(1)                                       // 00000000A44C: BF8CC17F
	v_mfma_f32_16x16x32_fp8_fp8 v[100:103], a[72:73], v[52:53], v[100:103]// 00000000A450: D3F30064 0D926948
	v_mfma_f32_16x16x32_fp8_fp8 v[104:107], a[88:89], v[52:53], v[104:107]// 00000000A458: D3F30068 0DA26958
	v_mfma_f32_16x16x32_fp8_fp8 v[100:103], a[74:75], v[54:55], v[100:103]// 00000000A460: D3F30064 0D926D4A
	buffer_load_dwordx4 a[120:123], v204, s[16:19], 0 offen offset:1024// 00000000A468: E05C1400 808478CC
	v_mfma_f32_16x16x32_fp8_fp8 v[104:107], a[90:91], v[54:55], v[104:107]// 00000000A470: D3F30068 0DA26D5A
	s_waitcnt lgkmcnt(0)                                       // 00000000A478: BF8CC07F
	v_mfma_f32_16x16x32_fp8_fp8 v[100:103], a[76:77], v[56:57], v[100:103]// 00000000A47C: D3F30064 0D92714C
	v_mfma_f32_16x16x32_fp8_fp8 v[104:107], a[92:93], v[56:57], v[104:107]// 00000000A484: D3F30068 0DA2715C
	v_mfma_f32_16x16x32_fp8_fp8 v[100:103], a[78:79], v[58:59], v[100:103]// 00000000A48C: D3F30064 0D92754E
	buffer_load_dwordx4 a[124:127], v205, s[16:19], 0 offen offset:1024// 00000000A494: E05C1400 80847CCD
	v_mfma_f32_16x16x32_fp8_fp8 v[104:107], a[94:95], v[58:59], v[104:107]// 00000000A49C: D3F30068 0DA2755E
	s_load_dword s61, s[20:21], 0x0                            // 00000000A4A4: C0020F4A 00000000
	s_addk_i32 s49, 0x100                                      // 00000000A4AC: B7310100
	s_branch label_3149                                        // 00000000A4B0: BF82105C

000000000000a4b4 <label_20ED>:
	s_cmp_lt_i32 s49, s60                                      // 00000000A4B4: BF043C31
	s_cbranch_scc0 label_3149                                  // 00000000A4B8: BF84105A
	s_waitcnt vmcnt(10)                                        // 00000000A4BC: BF8C0F7A
	v_mfma_f32_16x16x32_fp8_fp8 v[28:31], a[32:33], v[12:13], 0// 00000000A4C0: D3F3001C 0A021920
	s_add_u32 s12, s84, s64                                    // 00000000A4C8: 800C4054
	s_addc_u32 s13, s85, 0                                     // 00000000A4CC: 820D8055
	v_mfma_f32_16x16x32_fp8_fp8 v[28:31], a[34:35], v[14:15], v[28:31]// 00000000A4D0: D3F3001C 0C721D22
	s_add_u32 s16, s86, s65                                    // 00000000A4D8: 80104156
	s_addc_u32 s17, s87, 0                                     // 00000000A4DC: 82118057
	v_mfma_f32_16x16x32_fp8_fp8 v[28:31], a[36:37], v[16:17], v[28:31]// 00000000A4E0: D3F3001C 0C722124
	buffer_load_dwordx4 a[0:3], v200, s[12:15], 0 offen        // 00000000A4E8: E05C1000 808300C8
	v_mfma_f32_16x16x32_fp8_fp8 v[28:31], a[38:39], v[18:19], v[28:31]// 00000000A4F0: D3F3001C 0C722526
	s_add_u32 s28, s88, s66                                    // 00000000A4F8: 801C4258
	s_addc_u32 s29, s89, 0                                     // 00000000A4FC: 821D8059
	v_mfma_f32_16x16x32_fp8_fp8 v[32:35], a[40:41], v[12:13], 0// 00000000A500: D3F30020 0A021928
	s_add_u32 s32, s90, s66                                    // 00000000A508: 8020425A
	s_addc_u32 s33, s91, 0                                     // 00000000A50C: 8221805B
	v_mfma_f32_16x16x32_fp8_fp8 v[32:35], a[42:43], v[14:15], v[32:35]// 00000000A510: D3F30020 0C821D2A
	s_add_u32 s64, s64, 0x1000                                 // 00000000A518: 8040FF40 00001000
	s_add_u32 s65, s65, 0x8000                                 // 00000000A520: 8041FF41 00008000
	v_mfma_f32_16x16x32_fp8_fp8 v[32:35], a[44:45], v[16:17], v[32:35]// 00000000A528: D3F30020 0C82212C
	buffer_load_dwordx4 a[4:7], v201, s[12:15], 0 offen        // 00000000A530: E05C1000 808304C9
	v_mfma_f32_16x16x32_fp8_fp8 v[32:35], a[46:47], v[18:19], v[32:35]// 00000000A538: D3F30020 0C82252E
	s_add_u32 s66, s66, 0x400                                  // 00000000A540: 8042FF42 00000400
	v_mfma_f32_16x16x32_fp8_fp8 v[36:39], a[48:49], v[12:13], 0// 00000000A548: D3F30024 0A021930
	v_mfma_f32_16x16x32_fp8_fp8 v[36:39], a[50:51], v[14:15], v[36:39]// 00000000A550: D3F30024 0C921D32
	v_mfma_f32_16x16x32_fp8_fp8 v[36:39], a[52:53], v[16:17], v[36:39]// 00000000A558: D3F30024 0C922134
	buffer_load_dwordx4 a[8:11], v200, s[12:15], 0 offen offset:1024// 00000000A560: E05C1400 808308C8
	v_mfma_f32_16x16x32_fp8_fp8 v[36:39], a[54:55], v[18:19], v[36:39]// 00000000A568: D3F30024 0C922536
	v_mfma_f32_16x16x32_fp8_fp8 v[40:43], a[56:57], v[12:13], 0// 00000000A570: D3F30028 0A021938
	v_mfma_f32_16x16x32_fp8_fp8 v[40:43], a[58:59], v[14:15], v[40:43]// 00000000A578: D3F30028 0CA21D3A
	v_mfma_f32_16x16x32_fp8_fp8 v[40:43], a[60:61], v[16:17], v[40:43]// 00000000A580: D3F30028 0CA2213C
	buffer_load_dwordx4 a[12:15], v201, s[12:15], 0 offen offset:1024// 00000000A588: E05C1400 80830CC9
	v_mfma_f32_16x16x32_fp8_fp8 v[40:43], a[62:63], v[18:19], v[40:43]// 00000000A590: D3F30028 0CA2253E
	v_mfma_f32_16x16x32_fp8_fp8 v[44:47], a[32:33], v[20:21], 0// 00000000A598: D3F3002C 0A022920
	v_mfma_f32_16x16x32_fp8_fp8 v[44:47], a[34:35], v[22:23], v[44:47]// 00000000A5A0: D3F3002C 0CB22D22
	v_mfma_f32_16x16x32_fp8_fp8 v[44:47], a[36:37], v[24:25], v[44:47]// 00000000A5A8: D3F3002C 0CB23124
	buffer_load_dwordx4 a[16:19], v200, s[12:15], 0 offen offset:2048// 00000000A5B0: E05C1800 808310C8
	v_mfma_f32_16x16x32_fp8_fp8 v[44:47], a[38:39], v[26:27], v[44:47]// 00000000A5B8: D3F3002C 0CB23526
	v_mfma_f32_16x16x32_fp8_fp8 v[48:51], a[40:41], v[20:21], 0// 00000000A5C0: D3F30030 0A022928
	v_mfma_f32_16x16x32_fp8_fp8 v[48:51], a[42:43], v[22:23], v[48:51]// 00000000A5C8: D3F30030 0CC22D2A
	v_mfma_f32_16x16x32_fp8_fp8 v[48:51], a[44:45], v[24:25], v[48:51]// 00000000A5D0: D3F30030 0CC2312C
	buffer_load_dwordx4 a[20:23], v201, s[12:15], 0 offen offset:2048// 00000000A5D8: E05C1800 808314C9
	v_mfma_f32_16x16x32_fp8_fp8 v[48:51], a[46:47], v[26:27], v[48:51]// 00000000A5E0: D3F30030 0CC2352E
	v_mfma_f32_16x16x32_fp8_fp8 v[52:55], a[48:49], v[20:21], 0// 00000000A5E8: D3F30034 0A022930
	v_mfma_f32_16x16x32_fp8_fp8 v[52:55], a[50:51], v[22:23], v[52:55]// 00000000A5F0: D3F30034 0CD22D32
	v_mfma_f32_16x16x32_fp8_fp8 v[52:55], a[52:53], v[24:25], v[52:55]// 00000000A5F8: D3F30034 0CD23134
	buffer_load_dwordx4 a[24:27], v200, s[12:15], 0 offen offset:3072// 00000000A600: E05C1C00 808318C8
	v_mfma_f32_16x16x32_fp8_fp8 v[52:55], a[54:55], v[26:27], v[52:55]// 00000000A608: D3F30034 0CD23536
	v_mfma_f32_16x16x32_fp8_fp8 v[56:59], a[56:57], v[20:21], 0// 00000000A610: D3F30038 0A022938
	v_mfma_f32_16x16x32_fp8_fp8 v[56:59], a[58:59], v[22:23], v[56:59]// 00000000A618: D3F30038 0CE22D3A
	v_mfma_f32_16x16x32_fp8_fp8 v[56:59], a[60:61], v[24:25], v[56:59]// 00000000A620: D3F30038 0CE2313C
	buffer_load_dwordx4 a[28:31], v201, s[12:15], 0 offen offset:3072// 00000000A628: E05C1C00 80831CC9
	v_mfma_f32_16x16x32_fp8_fp8 v[56:59], a[62:63], v[26:27], v[56:59]// 00000000A630: D3F30038 0CE2353E
	s_waitcnt vmcnt(16)                                        // 00000000A638: BF8C4F70
	v_pk_mul_f32 v[28:29], v[124:125], v[28:29]                // 00000000A63C: D3B1401C 1802397C
	v_pk_mul_f32 v[30:31], v[124:125], v[30:31]                // 00000000A644: D3B1401E 18023D7C
	v_mul_f32_dpp v28, v129, v28 row_newbcast:0 row_mask:0xf bank_mask:0xf// 00000000A64C: 0A3838FA FF015081
	v_mul_f32_dpp v29, v129, v29 row_newbcast:1 row_mask:0xf bank_mask:0xf// 00000000A654: 0A3A3AFA FF015181
	v_mul_f32_dpp v30, v129, v30 row_newbcast:2 row_mask:0xf bank_mask:0xf// 00000000A65C: 0A3C3CFA FF015281
	v_mul_f32_dpp v31, v129, v31 row_newbcast:3 row_mask:0xf bank_mask:0xf// 00000000A664: 0A3E3EFA FF015381
	v_pk_mul_f32 v[32:33], v[124:125], v[32:33]                // 00000000A66C: D3B14020 1802417C
	v_pk_mul_f32 v[34:35], v[124:125], v[34:35]                // 00000000A674: D3B14022 1802457C
	v_mul_f32_dpp v32, v129, v32 row_newbcast:4 row_mask:0xf bank_mask:0xf// 00000000A67C: 0A4040FA FF015481
	v_mul_f32_dpp v33, v129, v33 row_newbcast:5 row_mask:0xf bank_mask:0xf// 00000000A684: 0A4242FA FF015581
	v_mul_f32_dpp v34, v129, v34 row_newbcast:6 row_mask:0xf bank_mask:0xf// 00000000A68C: 0A4444FA FF015681
	v_mul_f32_dpp v35, v129, v35 row_newbcast:7 row_mask:0xf bank_mask:0xf// 00000000A694: 0A4646FA FF015781
	v_pk_mul_f32 v[36:37], v[124:125], v[36:37]                // 00000000A69C: D3B14024 1802497C
	v_pk_mul_f32 v[38:39], v[124:125], v[38:39]                // 00000000A6A4: D3B14026 18024D7C
	v_mul_f32_dpp v36, v129, v36 row_newbcast:8 row_mask:0xf bank_mask:0xf// 00000000A6AC: 0A4848FA FF015881
	v_mul_f32_dpp v37, v129, v37 row_newbcast:9 row_mask:0xf bank_mask:0xf// 00000000A6B4: 0A4A4AFA FF015981
	v_mul_f32_dpp v38, v129, v38 row_newbcast:10 row_mask:0xf bank_mask:0xf// 00000000A6BC: 0A4C4CFA FF015A81
	v_mul_f32_dpp v39, v129, v39 row_newbcast:11 row_mask:0xf bank_mask:0xf// 00000000A6C4: 0A4E4EFA FF015B81
	v_pk_mul_f32 v[40:41], v[124:125], v[40:41]                // 00000000A6CC: D3B14028 1802517C
	v_pk_mul_f32 v[42:43], v[124:125], v[42:43]                // 00000000A6D4: D3B1402A 1802557C
	v_mul_f32_dpp v40, v129, v40 row_newbcast:12 row_mask:0xf bank_mask:0xf// 00000000A6DC: 0A5050FA FF015C81
	v_mul_f32_dpp v41, v129, v41 row_newbcast:13 row_mask:0xf bank_mask:0xf// 00000000A6E4: 0A5252FA FF015D81
	v_mul_f32_dpp v42, v129, v42 row_newbcast:14 row_mask:0xf bank_mask:0xf// 00000000A6EC: 0A5454FA FF015E81
	v_mul_f32_dpp v43, v129, v43 row_newbcast:15 row_mask:0xf bank_mask:0xf// 00000000A6F4: 0A5656FA FF015F81
	v_pk_mul_f32 v[44:45], v[126:127], v[44:45]                // 00000000A6FC: D3B1402C 1802597E
	v_pk_mul_f32 v[46:47], v[126:127], v[46:47]                // 00000000A704: D3B1402E 18025D7E
	v_mul_f32_dpp v44, v129, v44 row_newbcast:0 row_mask:0xf bank_mask:0xf// 00000000A70C: 0A5858FA FF015081
	v_mul_f32_dpp v45, v129, v45 row_newbcast:1 row_mask:0xf bank_mask:0xf// 00000000A714: 0A5A5AFA FF015181
	v_mul_f32_dpp v46, v129, v46 row_newbcast:2 row_mask:0xf bank_mask:0xf// 00000000A71C: 0A5C5CFA FF015281
	v_mul_f32_dpp v47, v129, v47 row_newbcast:3 row_mask:0xf bank_mask:0xf// 00000000A724: 0A5E5EFA FF015381
	v_pk_mul_f32 v[48:49], v[126:127], v[48:49]                // 00000000A72C: D3B14030 1802617E
	v_pk_mul_f32 v[50:51], v[126:127], v[50:51]                // 00000000A734: D3B14032 1802657E
	v_mul_f32_dpp v48, v129, v48 row_newbcast:4 row_mask:0xf bank_mask:0xf// 00000000A73C: 0A6060FA FF015481
	v_mul_f32_dpp v49, v129, v49 row_newbcast:5 row_mask:0xf bank_mask:0xf// 00000000A744: 0A6262FA FF015581
	v_mul_f32_dpp v50, v129, v50 row_newbcast:6 row_mask:0xf bank_mask:0xf// 00000000A74C: 0A6464FA FF015681
	v_mul_f32_dpp v51, v129, v51 row_newbcast:7 row_mask:0xf bank_mask:0xf// 00000000A754: 0A6666FA FF015781
	v_pk_mul_f32 v[52:53], v[126:127], v[52:53]                // 00000000A75C: D3B14034 1802697E
	v_pk_mul_f32 v[54:55], v[126:127], v[54:55]                // 00000000A764: D3B14036 18026D7E
	v_mul_f32_dpp v52, v129, v52 row_newbcast:8 row_mask:0xf bank_mask:0xf// 00000000A76C: 0A6868FA FF015881
	v_mul_f32_dpp v53, v129, v53 row_newbcast:9 row_mask:0xf bank_mask:0xf// 00000000A774: 0A6A6AFA FF015981
	v_mul_f32_dpp v54, v129, v54 row_newbcast:10 row_mask:0xf bank_mask:0xf// 00000000A77C: 0A6C6CFA FF015A81
	v_mul_f32_dpp v55, v129, v55 row_newbcast:11 row_mask:0xf bank_mask:0xf// 00000000A784: 0A6E6EFA FF015B81
	v_pk_mul_f32 v[56:57], v[126:127], v[56:57]                // 00000000A78C: D3B14038 1802717E
	v_pk_mul_f32 v[58:59], v[126:127], v[58:59]                // 00000000A794: D3B1403A 1802757E
	v_mul_f32_dpp v56, v129, v56 row_newbcast:12 row_mask:0xf bank_mask:0xf// 00000000A79C: 0A7070FA FF015C81
	v_mul_f32_dpp v57, v129, v57 row_newbcast:13 row_mask:0xf bank_mask:0xf// 00000000A7A4: 0A7272FA FF015D81
	v_mul_f32_dpp v58, v129, v58 row_newbcast:14 row_mask:0xf bank_mask:0xf// 00000000A7AC: 0A7474FA FF015E81
	v_mul_f32_dpp v59, v129, v59 row_newbcast:15 row_mask:0xf bank_mask:0xf// 00000000A7B4: 0A7676FA FF015F81
	v_add_u32_e32 v184, s49, v194                              // 00000000A7BC: 69718431
	v_add_u32_e32 v185, 0, v184                                // 00000000A7C0: 69737080
	v_cmp_lt_u32_e64 s[92:93], v185, v192                      // 00000000A7C4: D0C9005C 000381B9
	s_nop 0                                                    // 00000000A7CC: BF800000
	v_cndmask_b32_e64 v28, v195, v28, s[92:93]                 // 00000000A7D0: D100001C 017239C3
	v_add_u32_e32 v185, 1, v184                                // 00000000A7D8: 69737081
	v_cmp_lt_u32_e64 s[92:93], v185, v192                      // 00000000A7DC: D0C9005C 000381B9
	s_nop 0                                                    // 00000000A7E4: BF800000
	v_cndmask_b32_e64 v29, v195, v29, s[92:93]                 // 00000000A7E8: D100001D 01723BC3
	v_add_u32_e32 v185, 2, v184                                // 00000000A7F0: 69737082
	v_cmp_lt_u32_e64 s[92:93], v185, v192                      // 00000000A7F4: D0C9005C 000381B9
	s_nop 0                                                    // 00000000A7FC: BF800000
	v_cndmask_b32_e64 v30, v195, v30, s[92:93]                 // 00000000A800: D100001E 01723DC3
	v_add_u32_e32 v185, 3, v184                                // 00000000A808: 69737083
	v_cmp_lt_u32_e64 s[92:93], v185, v192                      // 00000000A80C: D0C9005C 000381B9
	s_nop 0                                                    // 00000000A814: BF800000
	v_cndmask_b32_e64 v31, v195, v31, s[92:93]                 // 00000000A818: D100001F 01723FC3
	v_add_u32_e32 v185, 64, v184                               // 00000000A820: 697370C0
	v_cmp_lt_u32_e64 s[92:93], v185, v192                      // 00000000A824: D0C9005C 000381B9
	s_nop 0                                                    // 00000000A82C: BF800000
	v_cndmask_b32_e64 v32, v195, v32, s[92:93]                 // 00000000A830: D1000020 017241C3
	v_add_u32_e32 v185, 0x41, v184                             // 00000000A838: 697370FF 00000041
	v_cmp_lt_u32_e64 s[92:93], v185, v192                      // 00000000A840: D0C9005C 000381B9
	s_nop 0                                                    // 00000000A848: BF800000
	v_cndmask_b32_e64 v33, v195, v33, s[92:93]                 // 00000000A84C: D1000021 017243C3
	v_add_u32_e32 v185, 0x42, v184                             // 00000000A854: 697370FF 00000042
	v_cmp_lt_u32_e64 s[92:93], v185, v192                      // 00000000A85C: D0C9005C 000381B9
	s_nop 0                                                    // 00000000A864: BF800000
	v_cndmask_b32_e64 v34, v195, v34, s[92:93]                 // 00000000A868: D1000022 017245C3
	v_add_u32_e32 v185, 0x43, v184                             // 00000000A870: 697370FF 00000043
	v_cmp_lt_u32_e64 s[92:93], v185, v192                      // 00000000A878: D0C9005C 000381B9
	s_nop 0                                                    // 00000000A880: BF800000
	v_cndmask_b32_e64 v35, v195, v35, s[92:93]                 // 00000000A884: D1000023 017247C3
	v_add_u32_e32 v185, 0x80, v184                             // 00000000A88C: 697370FF 00000080
	v_cmp_lt_u32_e64 s[92:93], v185, v192                      // 00000000A894: D0C9005C 000381B9
	s_nop 0                                                    // 00000000A89C: BF800000
	v_cndmask_b32_e64 v36, v195, v36, s[92:93]                 // 00000000A8A0: D1000024 017249C3
	v_add_u32_e32 v185, 0x81, v184                             // 00000000A8A8: 697370FF 00000081
	v_cmp_lt_u32_e64 s[92:93], v185, v192                      // 00000000A8B0: D0C9005C 000381B9
	s_nop 0                                                    // 00000000A8B8: BF800000
	v_cndmask_b32_e64 v37, v195, v37, s[92:93]                 // 00000000A8BC: D1000025 01724BC3
	v_add_u32_e32 v185, 0x82, v184                             // 00000000A8C4: 697370FF 00000082
	v_cmp_lt_u32_e64 s[92:93], v185, v192                      // 00000000A8CC: D0C9005C 000381B9
	s_nop 0                                                    // 00000000A8D4: BF800000
	v_cndmask_b32_e64 v38, v195, v38, s[92:93]                 // 00000000A8D8: D1000026 01724DC3
	v_add_u32_e32 v185, 0x83, v184                             // 00000000A8E0: 697370FF 00000083
	v_cmp_lt_u32_e64 s[92:93], v185, v192                      // 00000000A8E8: D0C9005C 000381B9
	s_nop 0                                                    // 00000000A8F0: BF800000
	v_cndmask_b32_e64 v39, v195, v39, s[92:93]                 // 00000000A8F4: D1000027 01724FC3
	v_add_u32_e32 v185, 0xc0, v184                             // 00000000A8FC: 697370FF 000000C0
	v_cmp_lt_u32_e64 s[92:93], v185, v192                      // 00000000A904: D0C9005C 000381B9
	s_nop 0                                                    // 00000000A90C: BF800000
	v_cndmask_b32_e64 v40, v195, v40, s[92:93]                 // 00000000A910: D1000028 017251C3
	v_add_u32_e32 v185, 0xc1, v184                             // 00000000A918: 697370FF 000000C1
	v_cmp_lt_u32_e64 s[92:93], v185, v192                      // 00000000A920: D0C9005C 000381B9
	s_nop 0                                                    // 00000000A928: BF800000
	v_cndmask_b32_e64 v41, v195, v41, s[92:93]                 // 00000000A92C: D1000029 017253C3
	v_add_u32_e32 v185, 0xc2, v184                             // 00000000A934: 697370FF 000000C2
	v_cmp_lt_u32_e64 s[92:93], v185, v192                      // 00000000A93C: D0C9005C 000381B9
	s_nop 0                                                    // 00000000A944: BF800000
	v_cndmask_b32_e64 v42, v195, v42, s[92:93]                 // 00000000A948: D100002A 017255C3
	v_add_u32_e32 v185, 0xc3, v184                             // 00000000A950: 697370FF 000000C3
	v_cmp_lt_u32_e64 s[92:93], v185, v192                      // 00000000A958: D0C9005C 000381B9
	s_nop 0                                                    // 00000000A960: BF800000
	v_cndmask_b32_e64 v43, v195, v43, s[92:93]                 // 00000000A964: D100002B 017257C3
	v_add_u32_e32 v185, 0, v184                                // 00000000A96C: 69737080
	v_cmp_lt_u32_e64 s[92:93], v185, v193                      // 00000000A970: D0C9005C 000383B9
	s_nop 0                                                    // 00000000A978: BF800000
	v_cndmask_b32_e64 v44, v195, v44, s[92:93]                 // 00000000A97C: D100002C 017259C3
	v_add_u32_e32 v185, 1, v184                                // 00000000A984: 69737081
	v_cmp_lt_u32_e64 s[92:93], v185, v193                      // 00000000A988: D0C9005C 000383B9
	s_nop 0                                                    // 00000000A990: BF800000
	v_cndmask_b32_e64 v45, v195, v45, s[92:93]                 // 00000000A994: D100002D 01725BC3
	v_add_u32_e32 v185, 2, v184                                // 00000000A99C: 69737082
	v_cmp_lt_u32_e64 s[92:93], v185, v193                      // 00000000A9A0: D0C9005C 000383B9
	s_nop 0                                                    // 00000000A9A8: BF800000
	v_cndmask_b32_e64 v46, v195, v46, s[92:93]                 // 00000000A9AC: D100002E 01725DC3
	v_add_u32_e32 v185, 3, v184                                // 00000000A9B4: 69737083
	v_cmp_lt_u32_e64 s[92:93], v185, v193                      // 00000000A9B8: D0C9005C 000383B9
	s_nop 0                                                    // 00000000A9C0: BF800000
	v_cndmask_b32_e64 v47, v195, v47, s[92:93]                 // 00000000A9C4: D100002F 01725FC3
	v_add_u32_e32 v185, 64, v184                               // 00000000A9CC: 697370C0
	v_cmp_lt_u32_e64 s[92:93], v185, v193                      // 00000000A9D0: D0C9005C 000383B9
	s_nop 0                                                    // 00000000A9D8: BF800000
	v_cndmask_b32_e64 v48, v195, v48, s[92:93]                 // 00000000A9DC: D1000030 017261C3
	v_add_u32_e32 v185, 0x41, v184                             // 00000000A9E4: 697370FF 00000041
	v_cmp_lt_u32_e64 s[92:93], v185, v193                      // 00000000A9EC: D0C9005C 000383B9
	s_nop 0                                                    // 00000000A9F4: BF800000
	v_cndmask_b32_e64 v49, v195, v49, s[92:93]                 // 00000000A9F8: D1000031 017263C3
	v_add_u32_e32 v185, 0x42, v184                             // 00000000AA00: 697370FF 00000042
	v_cmp_lt_u32_e64 s[92:93], v185, v193                      // 00000000AA08: D0C9005C 000383B9
	s_nop 0                                                    // 00000000AA10: BF800000
	v_cndmask_b32_e64 v50, v195, v50, s[92:93]                 // 00000000AA14: D1000032 017265C3
	v_add_u32_e32 v185, 0x43, v184                             // 00000000AA1C: 697370FF 00000043
	v_cmp_lt_u32_e64 s[92:93], v185, v193                      // 00000000AA24: D0C9005C 000383B9
	s_nop 0                                                    // 00000000AA2C: BF800000
	v_cndmask_b32_e64 v51, v195, v51, s[92:93]                 // 00000000AA30: D1000033 017267C3
	v_add_u32_e32 v185, 0x80, v184                             // 00000000AA38: 697370FF 00000080
	v_cmp_lt_u32_e64 s[92:93], v185, v193                      // 00000000AA40: D0C9005C 000383B9
	s_nop 0                                                    // 00000000AA48: BF800000
	v_cndmask_b32_e64 v52, v195, v52, s[92:93]                 // 00000000AA4C: D1000034 017269C3
	v_add_u32_e32 v185, 0x81, v184                             // 00000000AA54: 697370FF 00000081
	v_cmp_lt_u32_e64 s[92:93], v185, v193                      // 00000000AA5C: D0C9005C 000383B9
	s_nop 0                                                    // 00000000AA64: BF800000
	v_cndmask_b32_e64 v53, v195, v53, s[92:93]                 // 00000000AA68: D1000035 01726BC3
	v_add_u32_e32 v185, 0x82, v184                             // 00000000AA70: 697370FF 00000082
	v_cmp_lt_u32_e64 s[92:93], v185, v193                      // 00000000AA78: D0C9005C 000383B9
	s_nop 0                                                    // 00000000AA80: BF800000
	v_cndmask_b32_e64 v54, v195, v54, s[92:93]                 // 00000000AA84: D1000036 01726DC3
	v_add_u32_e32 v185, 0x83, v184                             // 00000000AA8C: 697370FF 00000083
	v_cmp_lt_u32_e64 s[92:93], v185, v193                      // 00000000AA94: D0C9005C 000383B9
	s_nop 0                                                    // 00000000AA9C: BF800000
	v_cndmask_b32_e64 v55, v195, v55, s[92:93]                 // 00000000AAA0: D1000037 01726FC3
	v_add_u32_e32 v185, 0xc0, v184                             // 00000000AAA8: 697370FF 000000C0
	v_cmp_lt_u32_e64 s[92:93], v185, v193                      // 00000000AAB0: D0C9005C 000383B9
	s_nop 0                                                    // 00000000AAB8: BF800000
	v_cndmask_b32_e64 v56, v195, v56, s[92:93]                 // 00000000AABC: D1000038 017271C3
	v_add_u32_e32 v185, 0xc1, v184                             // 00000000AAC4: 697370FF 000000C1
	v_cmp_lt_u32_e64 s[92:93], v185, v193                      // 00000000AACC: D0C9005C 000383B9
	s_nop 0                                                    // 00000000AAD4: BF800000
	v_cndmask_b32_e64 v57, v195, v57, s[92:93]                 // 00000000AAD8: D1000039 017273C3
	v_add_u32_e32 v185, 0xc2, v184                             // 00000000AAE0: 697370FF 000000C2
	v_cmp_lt_u32_e64 s[92:93], v185, v193                      // 00000000AAE8: D0C9005C 000383B9
	s_nop 0                                                    // 00000000AAF0: BF800000
	v_cndmask_b32_e64 v58, v195, v58, s[92:93]                 // 00000000AAF4: D100003A 017275C3
	v_add_u32_e32 v185, 0xc3, v184                             // 00000000AAFC: 697370FF 000000C3
	v_cmp_lt_u32_e64 s[92:93], v185, v193                      // 00000000AB04: D0C9005C 000383B9
	s_nop 0                                                    // 00000000AB0C: BF800000
	v_cndmask_b32_e64 v59, v195, v59, s[92:93]                 // 00000000AB10: D100003B 017277C3
	v_mov_b32_e32 v148, v28                                    // 00000000AB18: 7F28031C
	v_max3_f32 v148, v28, v29, v148                            // 00000000AB1C: D1D30094 06523B1C
	v_max3_f32 v148, v30, v31, v148                            // 00000000AB24: D1D30094 06523F1E
	v_max3_f32 v148, v32, v33, v148                            // 00000000AB2C: D1D30094 06524320
	v_max3_f32 v148, v34, v35, v148                            // 00000000AB34: D1D30094 06524722
	v_max3_f32 v148, v36, v37, v148                            // 00000000AB3C: D1D30094 06524B24
	v_max3_f32 v148, v38, v39, v148                            // 00000000AB44: D1D30094 06524F26
	v_max3_f32 v148, v40, v41, v148                            // 00000000AB4C: D1D30094 06525328
	v_max3_f32 v148, v42, v43, v148                            // 00000000AB54: D1D30094 0652572A
	v_mov_b32_e32 v149, v44                                    // 00000000AB5C: 7F2A032C
	v_max3_f32 v149, v44, v45, v149                            // 00000000AB60: D1D30095 06565B2C
	v_max3_f32 v149, v46, v47, v149                            // 00000000AB68: D1D30095 06565F2E
	v_max3_f32 v149, v48, v49, v149                            // 00000000AB70: D1D30095 06566330
	v_max3_f32 v149, v50, v51, v149                            // 00000000AB78: D1D30095 06566732
	v_max3_f32 v149, v52, v53, v149                            // 00000000AB80: D1D30095 06566B34
	v_max3_f32 v149, v54, v55, v149                            // 00000000AB88: D1D30095 06566F36
	v_max3_f32 v149, v56, v57, v149                            // 00000000AB90: D1D30095 06567338
	v_max3_f32 v149, v58, v59, v149                            // 00000000AB98: D1D30095 0656773A
	ds_write_b64 v214, v[148:149]                              // 00000000ABA0: D89A0000 000094D6
	v_pk_mul_f32 v[108:109], v[140:141], v[108:109]            // 00000000ABA8: D3B1406C 1802D98C
	v_pk_mul_f32 v[110:111], v[140:141], v[110:111]            // 00000000ABB0: D3B1406E 1802DD8C
	v_pk_mul_f32 v[112:113], v[140:141], v[112:113]            // 00000000ABB8: D3B14070 1802E18C
	v_pk_mul_f32 v[114:115], v[140:141], v[114:115]            // 00000000ABC0: D3B14072 1802E58C
	v_pk_mul_f32 v[116:117], v[142:143], v[116:117]            // 00000000ABC8: D3B14074 1802E98E
	v_pk_mul_f32 v[118:119], v[142:143], v[118:119]            // 00000000ABD0: D3B14076 1802ED8E
	v_pk_mul_f32 v[120:121], v[142:143], v[120:121]            // 00000000ABD8: D3B14078 1802F18E
	v_pk_mul_f32 v[122:123], v[142:143], v[122:123]            // 00000000ABE0: D3B1407A 1802F58E
	s_waitcnt lgkmcnt(0)                                       // 00000000ABE8: BF8CC07F
	s_barrier                                                  // 00000000ABEC: BF8A0000
	ds_read_b64 v[152:153], v215                               // 00000000ABF0: D8EC0000 980000D7
	ds_read_b64 v[154:155], v215 offset:128                    // 00000000ABF8: D8EC0080 9A0000D7
	ds_read_b64 v[156:157], v215 offset:256                    // 00000000AC00: D8EC0100 9C0000D7
	ds_read_b64 v[158:159], v215 offset:384                    // 00000000AC08: D8EC0180 9E0000D7
	ds_read_b64 v[160:161], v215 offset:512                    // 00000000AC10: D8EC0200 A00000D7
	ds_read_b64 v[162:163], v215 offset:640                    // 00000000AC18: D8EC0280 A20000D7
	ds_read_b64 v[164:165], v215 offset:768                    // 00000000AC20: D8EC0300 A40000D7
	ds_read_b64 v[166:167], v215 offset:896                    // 00000000AC28: D8EC0380 A60000D7
	ds_read_b64 v[168:169], v215 offset:1024                   // 00000000AC30: D8EC0400 A80000D7
	ds_read_b64 v[170:171], v215 offset:1152                   // 00000000AC38: D8EC0480 AA0000D7
	ds_read_b64 v[172:173], v215 offset:1280                   // 00000000AC40: D8EC0500 AC0000D7
	ds_read_b64 v[174:175], v215 offset:1408                   // 00000000AC48: D8EC0580 AE0000D7
	ds_read_b64 v[176:177], v215 offset:1536                   // 00000000AC50: D8EC0600 B00000D7
	ds_read_b64 v[178:179], v215 offset:1664                   // 00000000AC58: D8EC0680 B20000D7
	ds_read_b64 v[180:181], v215 offset:1792                   // 00000000AC60: D8EC0700 B40000D7
	ds_read_b64 v[182:183], v215 offset:1920                   // 00000000AC68: D8EC0780 B60000D7
	v_pk_mul_f32 v[92:93], v[132:133], v[92:93]                // 00000000AC70: D3B1405C 1802B984
	v_pk_mul_f32 v[94:95], v[132:133], v[94:95]                // 00000000AC78: D3B1405E 1802BD84
	v_pk_mul_f32 v[96:97], v[132:133], v[96:97]                // 00000000AC80: D3B14060 1802C184
	v_pk_mul_f32 v[98:99], v[132:133], v[98:99]                // 00000000AC88: D3B14062 1802C584
	v_pk_mul_f32 v[100:101], v[134:135], v[100:101]            // 00000000AC90: D3B14064 1802C986
	v_pk_mul_f32 v[102:103], v[134:135], v[102:103]            // 00000000AC98: D3B14066 1802CD86
	v_pk_mul_f32 v[104:105], v[134:135], v[104:105]            // 00000000ACA0: D3B14068 1802D186
	v_pk_mul_f32 v[106:107], v[134:135], v[106:107]            // 00000000ACA8: D3B1406A 1802D586
	s_waitcnt lgkmcnt(0)                                       // 00000000ACB0: BF8CC07F
	v_max3_f32 v148, v152, v154, v148                          // 00000000ACB4: D1D30094 06533598
	v_max3_f32 v149, v153, v155, v149                          // 00000000ACBC: D1D30095 06573799
	v_max3_f32 v148, v156, v158, v148                          // 00000000ACC4: D1D30094 06533D9C
	v_max3_f32 v149, v157, v159, v149                          // 00000000ACCC: D1D30095 06573F9D
	v_max3_f32 v148, v160, v162, v148                          // 00000000ACD4: D1D30094 065345A0
	v_max3_f32 v149, v161, v163, v149                          // 00000000ACDC: D1D30095 065747A1
	v_max3_f32 v148, v164, v166, v148                          // 00000000ACE4: D1D30094 06534DA4
	v_max3_f32 v149, v165, v167, v149                          // 00000000ACEC: D1D30095 06574FA5
	v_max3_f32 v148, v168, v170, v148                          // 00000000ACF4: D1D30094 065355A8
	v_max3_f32 v149, v169, v171, v149                          // 00000000ACFC: D1D30095 065757A9
	v_max3_f32 v148, v172, v174, v148                          // 00000000AD04: D1D30094 06535DAC
	v_max3_f32 v149, v173, v175, v149                          // 00000000AD0C: D1D30095 06575FAD
	v_max3_f32 v148, v176, v178, v148                          // 00000000AD14: D1D30094 065365B0
	v_max3_f32 v149, v177, v179, v149                          // 00000000AD1C: D1D30095 065767B1
	v_max3_f32 v148, v180, v182, v148                          // 00000000AD24: D1D30094 06536DB4
	v_max3_f32 v149, v181, v183, v149                          // 00000000AD2C: D1D30095 06576FB5
	v_max_f32_e32 v138, v148, v136                             // 00000000AD34: 17151194
	v_mul_f32_e64 v184, -s51, v138                             // 00000000AD38: D10500B8 20031433
	v_mov_b32_e32 v185, v184                                   // 00000000AD40: 7F7203B8
	v_pk_fma_f32 v[28:29], v[28:29], s[68:69], v[184:185]      // 00000000AD44: D3B0401C 1EE0891C
	v_pk_fma_f32 v[30:31], v[30:31], s[68:69], v[184:185]      // 00000000AD4C: D3B0401E 1EE0891E
	v_exp_f32_e32 v28, v28                                     // 00000000AD54: 7E38411C
	v_exp_f32_e32 v29, v29                                     // 00000000AD58: 7E3A411D
	v_exp_f32_e32 v30, v30                                     // 00000000AD5C: 7E3C411E
	v_exp_f32_e32 v31, v31                                     // 00000000AD60: 7E3E411F
	v_pk_fma_f32 v[32:33], v[32:33], s[68:69], v[184:185]      // 00000000AD64: D3B04020 1EE08920
	v_pk_fma_f32 v[34:35], v[34:35], s[68:69], v[184:185]      // 00000000AD6C: D3B04022 1EE08922
	v_exp_f32_e32 v32, v32                                     // 00000000AD74: 7E404120
	v_exp_f32_e32 v33, v33                                     // 00000000AD78: 7E424121
	v_exp_f32_e32 v34, v34                                     // 00000000AD7C: 7E444122
	v_exp_f32_e32 v35, v35                                     // 00000000AD80: 7E464123
	v_pk_fma_f32 v[36:37], v[36:37], s[68:69], v[184:185]      // 00000000AD84: D3B04024 1EE08924
	v_pk_fma_f32 v[38:39], v[38:39], s[68:69], v[184:185]      // 00000000AD8C: D3B04026 1EE08926
	v_exp_f32_e32 v36, v36                                     // 00000000AD94: 7E484124
	v_exp_f32_e32 v37, v37                                     // 00000000AD98: 7E4A4125
	v_exp_f32_e32 v38, v38                                     // 00000000AD9C: 7E4C4126
	v_exp_f32_e32 v39, v39                                     // 00000000ADA0: 7E4E4127
	v_pk_fma_f32 v[40:41], v[40:41], s[68:69], v[184:185]      // 00000000ADA4: D3B04028 1EE08928
	v_pk_fma_f32 v[42:43], v[42:43], s[68:69], v[184:185]      // 00000000ADAC: D3B0402A 1EE0892A
	v_exp_f32_e32 v40, v40                                     // 00000000ADB4: 7E504128
	v_exp_f32_e32 v41, v41                                     // 00000000ADB8: 7E524129
	v_exp_f32_e32 v42, v42                                     // 00000000ADBC: 7E54412A
	v_exp_f32_e32 v43, v43                                     // 00000000ADC0: 7E56412B
	v_max_f32_e32 v139, v149, v137                             // 00000000ADC4: 17171395
	v_mul_f32_e64 v184, -s51, v139                             // 00000000ADC8: D10500B8 20031633
	v_mov_b32_e32 v185, v184                                   // 00000000ADD0: 7F7203B8
	v_pk_fma_f32 v[44:45], v[44:45], s[68:69], v[184:185]      // 00000000ADD4: D3B0402C 1EE0892C
	v_pk_fma_f32 v[46:47], v[46:47], s[68:69], v[184:185]      // 00000000ADDC: D3B0402E 1EE0892E
	v_exp_f32_e32 v44, v44                                     // 00000000ADE4: 7E58412C
	v_exp_f32_e32 v45, v45                                     // 00000000ADE8: 7E5A412D
	v_exp_f32_e32 v46, v46                                     // 00000000ADEC: 7E5C412E
	v_exp_f32_e32 v47, v47                                     // 00000000ADF0: 7E5E412F
	v_pk_fma_f32 v[48:49], v[48:49], s[68:69], v[184:185]      // 00000000ADF4: D3B04030 1EE08930
	v_pk_fma_f32 v[50:51], v[50:51], s[68:69], v[184:185]      // 00000000ADFC: D3B04032 1EE08932
	v_exp_f32_e32 v48, v48                                     // 00000000AE04: 7E604130
	v_exp_f32_e32 v49, v49                                     // 00000000AE08: 7E624131
	v_exp_f32_e32 v50, v50                                     // 00000000AE0C: 7E644132
	v_exp_f32_e32 v51, v51                                     // 00000000AE10: 7E664133
	v_pk_fma_f32 v[52:53], v[52:53], s[68:69], v[184:185]      // 00000000AE14: D3B04034 1EE08934
	v_pk_fma_f32 v[54:55], v[54:55], s[68:69], v[184:185]      // 00000000AE1C: D3B04036 1EE08936
	v_exp_f32_e32 v52, v52                                     // 00000000AE24: 7E684134
	v_exp_f32_e32 v53, v53                                     // 00000000AE28: 7E6A4135
	v_exp_f32_e32 v54, v54                                     // 00000000AE2C: 7E6C4136
	v_exp_f32_e32 v55, v55                                     // 00000000AE30: 7E6E4137
	v_pk_fma_f32 v[56:57], v[56:57], s[68:69], v[184:185]      // 00000000AE34: D3B04038 1EE08938
	v_pk_fma_f32 v[58:59], v[58:59], s[68:69], v[184:185]      // 00000000AE3C: D3B0403A 1EE0893A
	v_exp_f32_e32 v56, v56                                     // 00000000AE44: 7E704138
	v_exp_f32_e32 v57, v57                                     // 00000000AE48: 7E724139
	v_exp_f32_e32 v58, v58                                     // 00000000AE4C: 7E74413A
	v_exp_f32_e32 v59, v59                                     // 00000000AE50: 7E76413B
	v_mul_f32_dpp v60, v131, v28 row_newbcast:0 row_mask:0xf bank_mask:0xf// 00000000AE54: 0A7838FA FF015083
	v_mul_f32_dpp v61, v131, v29 row_newbcast:1 row_mask:0xf bank_mask:0xf// 00000000AE5C: 0A7A3AFA FF015183
	v_mul_f32_dpp v62, v131, v30 row_newbcast:2 row_mask:0xf bank_mask:0xf// 00000000AE64: 0A7C3CFA FF015283
	v_mul_f32_dpp v63, v131, v31 row_newbcast:3 row_mask:0xf bank_mask:0xf// 00000000AE6C: 0A7E3EFA FF015383
	v_mul_f32_dpp v64, v131, v32 row_newbcast:4 row_mask:0xf bank_mask:0xf// 00000000AE74: 0A8040FA FF015483
	v_mul_f32_dpp v65, v131, v33 row_newbcast:5 row_mask:0xf bank_mask:0xf// 00000000AE7C: 0A8242FA FF015583
	v_mul_f32_dpp v66, v131, v34 row_newbcast:6 row_mask:0xf bank_mask:0xf// 00000000AE84: 0A8444FA FF015683
	v_mul_f32_dpp v67, v131, v35 row_newbcast:7 row_mask:0xf bank_mask:0xf// 00000000AE8C: 0A8646FA FF015783
	v_mul_f32_dpp v68, v131, v36 row_newbcast:8 row_mask:0xf bank_mask:0xf// 00000000AE94: 0A8848FA FF015883
	v_mul_f32_dpp v69, v131, v37 row_newbcast:9 row_mask:0xf bank_mask:0xf// 00000000AE9C: 0A8A4AFA FF015983
	v_mul_f32_dpp v70, v131, v38 row_newbcast:10 row_mask:0xf bank_mask:0xf// 00000000AEA4: 0A8C4CFA FF015A83
	v_mul_f32_dpp v71, v131, v39 row_newbcast:11 row_mask:0xf bank_mask:0xf// 00000000AEAC: 0A8E4EFA FF015B83
	v_mul_f32_dpp v72, v131, v40 row_newbcast:12 row_mask:0xf bank_mask:0xf// 00000000AEB4: 0A9050FA FF015C83
	v_mul_f32_dpp v73, v131, v41 row_newbcast:13 row_mask:0xf bank_mask:0xf// 00000000AEBC: 0A9252FA FF015D83
	v_mul_f32_dpp v74, v131, v42 row_newbcast:14 row_mask:0xf bank_mask:0xf// 00000000AEC4: 0A9454FA FF015E83
	v_mul_f32_dpp v75, v131, v43 row_newbcast:15 row_mask:0xf bank_mask:0xf// 00000000AECC: 0A9656FA FF015F83
	v_mul_f32_dpp v76, v131, v44 row_newbcast:0 row_mask:0xf bank_mask:0xf// 00000000AED4: 0A9858FA FF015083
	v_mul_f32_dpp v77, v131, v45 row_newbcast:1 row_mask:0xf bank_mask:0xf// 00000000AEDC: 0A9A5AFA FF015183
	v_mul_f32_dpp v78, v131, v46 row_newbcast:2 row_mask:0xf bank_mask:0xf// 00000000AEE4: 0A9C5CFA FF015283
	v_mul_f32_dpp v79, v131, v47 row_newbcast:3 row_mask:0xf bank_mask:0xf// 00000000AEEC: 0A9E5EFA FF015383
	v_mul_f32_dpp v80, v131, v48 row_newbcast:4 row_mask:0xf bank_mask:0xf// 00000000AEF4: 0AA060FA FF015483
	v_mul_f32_dpp v81, v131, v49 row_newbcast:5 row_mask:0xf bank_mask:0xf// 00000000AEFC: 0AA262FA FF015583
	v_mul_f32_dpp v82, v131, v50 row_newbcast:6 row_mask:0xf bank_mask:0xf// 00000000AF04: 0AA464FA FF015683
	v_mul_f32_dpp v83, v131, v51 row_newbcast:7 row_mask:0xf bank_mask:0xf// 00000000AF0C: 0AA666FA FF015783
	v_mul_f32_dpp v84, v131, v52 row_newbcast:8 row_mask:0xf bank_mask:0xf// 00000000AF14: 0AA868FA FF015883
	v_mul_f32_dpp v85, v131, v53 row_newbcast:9 row_mask:0xf bank_mask:0xf// 00000000AF1C: 0AAA6AFA FF015983
	v_mul_f32_dpp v86, v131, v54 row_newbcast:10 row_mask:0xf bank_mask:0xf// 00000000AF24: 0AAC6CFA FF015A83
	v_mul_f32_dpp v87, v131, v55 row_newbcast:11 row_mask:0xf bank_mask:0xf// 00000000AF2C: 0AAE6EFA FF015B83
	v_mul_f32_dpp v88, v131, v56 row_newbcast:12 row_mask:0xf bank_mask:0xf// 00000000AF34: 0AB070FA FF015C83
	v_mul_f32_dpp v89, v131, v57 row_newbcast:13 row_mask:0xf bank_mask:0xf// 00000000AF3C: 0AB272FA FF015D83
	v_mul_f32_dpp v90, v131, v58 row_newbcast:14 row_mask:0xf bank_mask:0xf// 00000000AF44: 0AB474FA FF015E83
	v_mul_f32_dpp v91, v131, v59 row_newbcast:15 row_mask:0xf bank_mask:0xf// 00000000AF4C: 0AB676FA FF015F83
	v_mov_b32_e32 v148, 0x358637bd                             // 00000000AF54: 7F2802FF 358637BD
	v_max3_f32 v148, |v60|, |v61|, v148                        // 00000000AF5C: D1D30394 06527B3C
	v_max3_f32 v148, |v62|, |v63|, v148                        // 00000000AF64: D1D30394 06527F3E
	v_max3_f32 v148, |v64|, |v65|, v148                        // 00000000AF6C: D1D30394 06528340
	v_max3_f32 v148, |v66|, |v67|, v148                        // 00000000AF74: D1D30394 06528742
	v_max3_f32 v148, |v68|, |v69|, v148                        // 00000000AF7C: D1D30394 06528B44
	v_max3_f32 v148, |v70|, |v71|, v148                        // 00000000AF84: D1D30394 06528F46
	v_max3_f32 v148, |v72|, |v73|, v148                        // 00000000AF8C: D1D30394 06529348
	v_max3_f32 v148, |v74|, |v75|, v148                        // 00000000AF94: D1D30394 0652974A
	v_mov_b32_e32 v149, 0x358637bd                             // 00000000AF9C: 7F2A02FF 358637BD
	v_max3_f32 v149, |v76|, |v77|, v149                        // 00000000AFA4: D1D30395 06569B4C
	v_max3_f32 v149, |v78|, |v79|, v149                        // 00000000AFAC: D1D30395 06569F4E
	v_max3_f32 v149, |v80|, |v81|, v149                        // 00000000AFB4: D1D30395 0656A350
	v_max3_f32 v149, |v82|, |v83|, v149                        // 00000000AFBC: D1D30395 0656A752
	v_max3_f32 v149, |v84|, |v85|, v149                        // 00000000AFC4: D1D30395 0656AB54
	v_max3_f32 v149, |v86|, |v87|, v149                        // 00000000AFCC: D1D30395 0656AF56
	v_max3_f32 v149, |v88|, |v89|, v149                        // 00000000AFD4: D1D30395 0656B358
	v_max3_f32 v149, |v90|, |v91|, v149                        // 00000000AFDC: D1D30395 0656B75A
	ds_write_b64 v214, v[148:149] offset:2304                  // 00000000AFE4: D89A0900 000094D6
	buffer_load_dword v128, v206, s[28:31], 0 offen            // 00000000AFEC: E0501000 800780CE
	v_sub_f32_e32 v140, v136, v138                             // 00000000AFF4: 05191588
	v_cmp_eq_u32_e64 s[92:93], v195, v136                      // 00000000AFF8: D0CA005C 000311C3
	s_nop 0                                                    // 00000000B000: BF800000
	v_cndmask_b32_e64 v140, v140, 0, s[92:93]                  // 00000000B004: D100008C 0171018C
	v_mov_b32_e32 v136, v138                                   // 00000000B00C: 7F10038A
	v_mul_f32_e32 v140, s51, v140                              // 00000000B010: 0B191833
	v_exp_f32_e32 v140, v140                                   // 00000000B014: 7F18418C
	v_sub_f32_e32 v142, v137, v139                             // 00000000B018: 051D1789
	v_cmp_eq_u32_e64 s[92:93], v195, v137                      // 00000000B01C: D0CA005C 000313C3
	s_nop 0                                                    // 00000000B024: BF800000
	v_cndmask_b32_e64 v142, v142, 0, s[92:93]                  // 00000000B028: D100008E 0171018E
	v_mov_b32_e32 v137, v139                                   // 00000000B030: 7F12038B
	v_mul_f32_e32 v142, s51, v142                              // 00000000B034: 0B1D1C33
	v_exp_f32_e32 v142, v142                                   // 00000000B038: 7F1C418E
	v_mov_b32_e32 v141, v140                                   // 00000000B03C: 7F1A038C
	v_mov_b32_e32 v143, v142                                   // 00000000B040: 7F1E038E
	buffer_load_dword v130, v207, s[32:35], 0 offen            // 00000000B044: E0501000 800882CF
	s_waitcnt lgkmcnt(0)                                       // 00000000B04C: BF8CC07F
	s_barrier                                                  // 00000000B050: BF8A0000
	ds_read_b64 v[152:153], v215 offset:2304                   // 00000000B054: D8EC0900 980000D7
	ds_read_b64 v[154:155], v215 offset:2432                   // 00000000B05C: D8EC0980 9A0000D7
	ds_read_b64 v[156:157], v215 offset:2560                   // 00000000B064: D8EC0A00 9C0000D7
	ds_read_b64 v[158:159], v215 offset:2688                   // 00000000B06C: D8EC0A80 9E0000D7
	ds_read_b64 v[160:161], v215 offset:2816                   // 00000000B074: D8EC0B00 A00000D7
	ds_read_b64 v[162:163], v215 offset:2944                   // 00000000B07C: D8EC0B80 A20000D7
	ds_read_b64 v[164:165], v215 offset:3072                   // 00000000B084: D8EC0C00 A40000D7
	ds_read_b64 v[166:167], v215 offset:3200                   // 00000000B08C: D8EC0C80 A60000D7
	ds_read_b64 v[168:169], v215 offset:3328                   // 00000000B094: D8EC0D00 A80000D7
	ds_read_b64 v[170:171], v215 offset:3456                   // 00000000B09C: D8EC0D80 AA0000D7
	ds_read_b64 v[172:173], v215 offset:3584                   // 00000000B0A4: D8EC0E00 AC0000D7
	ds_read_b64 v[174:175], v215 offset:3712                   // 00000000B0AC: D8EC0E80 AE0000D7
	ds_read_b64 v[176:177], v215 offset:3840                   // 00000000B0B4: D8EC0F00 B00000D7
	ds_read_b64 v[178:179], v215 offset:3968                   // 00000000B0BC: D8EC0F80 B20000D7
	ds_read_b64 v[180:181], v215 offset:4096                   // 00000000B0C4: D8EC1000 B40000D7
	ds_read_b64 v[182:183], v215 offset:4224                   // 00000000B0CC: D8EC1080 B60000D7
	v_mul_f32_e32 v144, v140, v144                             // 00000000B0D4: 0B21218C
	v_add_f32_e32 v144, v28, v144                              // 00000000B0D8: 0321211C
	v_add_f32_e32 v144, v29, v144                              // 00000000B0DC: 0321211D
	v_add_f32_e32 v144, v30, v144                              // 00000000B0E0: 0321211E
	v_add_f32_e32 v144, v31, v144                              // 00000000B0E4: 0321211F
	v_add_f32_e32 v144, v32, v144                              // 00000000B0E8: 03212120
	v_add_f32_e32 v144, v33, v144                              // 00000000B0EC: 03212121
	v_add_f32_e32 v144, v34, v144                              // 00000000B0F0: 03212122
	v_add_f32_e32 v144, v35, v144                              // 00000000B0F4: 03212123
	v_add_f32_e32 v144, v36, v144                              // 00000000B0F8: 03212124
	v_add_f32_e32 v144, v37, v144                              // 00000000B0FC: 03212125
	v_add_f32_e32 v144, v38, v144                              // 00000000B100: 03212126
	v_add_f32_e32 v144, v39, v144                              // 00000000B104: 03212127
	v_add_f32_e32 v144, v40, v144                              // 00000000B108: 03212128
	v_add_f32_e32 v144, v41, v144                              // 00000000B10C: 03212129
	v_add_f32_e32 v144, v42, v144                              // 00000000B110: 0321212A
	v_add_f32_e32 v144, v43, v144                              // 00000000B114: 0321212B
	v_mul_f32_e32 v145, v142, v145                             // 00000000B118: 0B23238E
	v_add_f32_e32 v145, v44, v145                              // 00000000B11C: 0323232C
	v_add_f32_e32 v145, v45, v145                              // 00000000B120: 0323232D
	v_add_f32_e32 v145, v46, v145                              // 00000000B124: 0323232E
	v_add_f32_e32 v145, v47, v145                              // 00000000B128: 0323232F
	v_add_f32_e32 v145, v48, v145                              // 00000000B12C: 03232330
	v_add_f32_e32 v145, v49, v145                              // 00000000B130: 03232331
	v_add_f32_e32 v145, v50, v145                              // 00000000B134: 03232332
	v_add_f32_e32 v145, v51, v145                              // 00000000B138: 03232333
	v_add_f32_e32 v145, v52, v145                              // 00000000B13C: 03232334
	v_add_f32_e32 v145, v53, v145                              // 00000000B140: 03232335
	v_add_f32_e32 v145, v54, v145                              // 00000000B144: 03232336
	v_add_f32_e32 v145, v55, v145                              // 00000000B148: 03232337
	v_add_f32_e32 v145, v56, v145                              // 00000000B14C: 03232338
	v_add_f32_e32 v145, v57, v145                              // 00000000B150: 03232339
	v_add_f32_e32 v145, v58, v145                              // 00000000B154: 0323233A
	v_add_f32_e32 v145, v59, v145                              // 00000000B158: 0323233B
	s_waitcnt lgkmcnt(0)                                       // 00000000B15C: BF8CC07F
	v_max3_f32 v148, v152, v154, v148                          // 00000000B160: D1D30094 06533598
	v_max3_f32 v149, v153, v155, v149                          // 00000000B168: D1D30095 06573799
	v_max3_f32 v148, v156, v158, v148                          // 00000000B170: D1D30094 06533D9C
	v_max3_f32 v149, v157, v159, v149                          // 00000000B178: D1D30095 06573F9D
	v_max3_f32 v148, v160, v162, v148                          // 00000000B180: D1D30094 065345A0
	v_max3_f32 v149, v161, v163, v149                          // 00000000B188: D1D30095 065747A1
	v_max3_f32 v148, v164, v166, v148                          // 00000000B190: D1D30094 06534DA4
	v_max3_f32 v149, v165, v167, v149                          // 00000000B198: D1D30095 06574FA5
	v_max3_f32 v148, v168, v170, v148                          // 00000000B1A0: D1D30094 065355A8
	v_max3_f32 v149, v169, v171, v149                          // 00000000B1A8: D1D30095 065757A9
	v_max3_f32 v148, v172, v174, v148                          // 00000000B1B0: D1D30094 06535DAC
	v_max3_f32 v149, v173, v175, v149                          // 00000000B1B8: D1D30095 06575FAD
	v_max3_f32 v148, v176, v178, v148                          // 00000000B1C0: D1D30094 065365B0
	v_max3_f32 v149, v177, v179, v149                          // 00000000B1C8: D1D30095 065767B1
	v_max3_f32 v148, v180, v182, v148                          // 00000000B1D0: D1D30094 06536DB4
	v_max3_f32 v149, v181, v183, v149                          // 00000000B1D8: D1D30095 06576FB5
	v_rcp_f32_e32 v148, v148                                   // 00000000B1E0: 7F284594
	v_rcp_f32_e32 v149, v149                                   // 00000000B1E4: 7F2A4595
	v_mul_f32_e32 v148, 0x43700000, v148                       // 00000000B1E8: 0B2928FF 43700000
	v_mul_f32_e32 v149, 0x43700000, v149                       // 00000000B1F0: 0B2B2AFF 43700000
	v_mov_b32_e32 v150, v149                                   // 00000000B1F8: 7F2C0395
	v_mov_b32_e32 v151, v149                                   // 00000000B1FC: 7F2E0395
	v_mov_b32_e32 v149, v148                                   // 00000000B200: 7F2A0394
	v_pk_mul_f32 v[28:29], v[148:149], v[60:61]                // 00000000B204: D3B1401C 18027994
	v_pk_mul_f32 v[30:31], v[148:149], v[62:63]                // 00000000B20C: D3B1401E 18027D94
	v_pk_mul_f32 v[32:33], v[148:149], v[64:65]                // 00000000B214: D3B14020 18028194
	v_pk_mul_f32 v[34:35], v[148:149], v[66:67]                // 00000000B21C: D3B14022 18028594
	v_pk_mul_f32 v[36:37], v[148:149], v[68:69]                // 00000000B224: D3B14024 18028994
	v_pk_mul_f32 v[38:39], v[148:149], v[70:71]                // 00000000B22C: D3B14026 18028D94
	v_pk_mul_f32 v[40:41], v[148:149], v[72:73]                // 00000000B234: D3B14028 18029194
	v_pk_mul_f32 v[42:43], v[148:149], v[74:75]                // 00000000B23C: D3B1402A 18029594
	v_pk_mul_f32 v[44:45], v[150:151], v[76:77]                // 00000000B244: D3B1402C 18029996
	v_pk_mul_f32 v[46:47], v[150:151], v[78:79]                // 00000000B24C: D3B1402E 18029D96
	v_pk_mul_f32 v[48:49], v[150:151], v[80:81]                // 00000000B254: D3B14030 1802A196
	v_pk_mul_f32 v[50:51], v[150:151], v[82:83]                // 00000000B25C: D3B14032 1802A596
	v_pk_mul_f32 v[52:53], v[150:151], v[84:85]                // 00000000B264: D3B14034 1802A996
	v_pk_mul_f32 v[54:55], v[150:151], v[86:87]                // 00000000B26C: D3B14036 1802AD96
	v_pk_mul_f32 v[56:57], v[150:151], v[88:89]                // 00000000B274: D3B14038 1802B196
	v_pk_mul_f32 v[58:59], v[150:151], v[90:91]                // 00000000B27C: D3B1403A 1802B596
	v_cvt_pk_fp8_f32 v28, v28, v29                             // 00000000B284: D2A2001C 00023B1C
	v_cvt_pk_fp8_f32 v28, v30, v31 op_sel:[0,0,1]              // 00000000B28C: D2A2401C 00023F1E
	v_cvt_pk_fp8_f32 v29, v32, v33                             // 00000000B294: D2A2001D 00024320
	v_cvt_pk_fp8_f32 v29, v34, v35 op_sel:[0,0,1]              // 00000000B29C: D2A2401D 00024722
	v_cvt_pk_fp8_f32 v30, v36, v37                             // 00000000B2A4: D2A2001E 00024B24
	v_cvt_pk_fp8_f32 v30, v38, v39 op_sel:[0,0,1]              // 00000000B2AC: D2A2401E 00024F26
	v_cvt_pk_fp8_f32 v31, v40, v41                             // 00000000B2B4: D2A2001F 00025328
	v_cvt_pk_fp8_f32 v31, v42, v43 op_sel:[0,0,1]              // 00000000B2BC: D2A2401F 0002572A
	v_cvt_pk_fp8_f32 v32, v44, v45                             // 00000000B2C4: D2A20020 00025B2C
	v_cvt_pk_fp8_f32 v32, v46, v47 op_sel:[0,0,1]              // 00000000B2CC: D2A24020 00025F2E
	v_cvt_pk_fp8_f32 v33, v48, v49                             // 00000000B2D4: D2A20021 00026330
	v_cvt_pk_fp8_f32 v33, v50, v51 op_sel:[0,0,1]              // 00000000B2DC: D2A24021 00026732
	v_cvt_pk_fp8_f32 v34, v52, v53                             // 00000000B2E4: D2A20022 00026B34
	v_cvt_pk_fp8_f32 v34, v54, v55 op_sel:[0,0,1]              // 00000000B2EC: D2A24022 00026F36
	v_cvt_pk_fp8_f32 v35, v56, v57                             // 00000000B2F4: D2A20023 00027338
	v_cvt_pk_fp8_f32 v35, v58, v59 op_sel:[0,0,1]              // 00000000B2FC: D2A24023 0002773A
	ds_write_b32 v216, v28 offset:4608                         // 00000000B304: D81A1200 00001CD8
	ds_write_b32 v216, v29 offset:5632                         // 00000000B30C: D81A1600 00001DD8
	ds_write_b32 v216, v30 offset:6656                         // 00000000B314: D81A1A00 00001ED8
	ds_write_b32 v216, v31 offset:7680                         // 00000000B31C: D81A1E00 00001FD8
	ds_write_b32 v216, v32 offset:8704                         // 00000000B324: D81A2200 000020D8
	ds_write_b32 v216, v33 offset:9728                         // 00000000B32C: D81A2600 000021D8
	ds_write_b32 v216, v34 offset:10752                        // 00000000B334: D81A2A00 000022D8
	ds_write_b32 v216, v35 offset:11776                        // 00000000B33C: D81A2E00 000023D8
	v_rcp_f32_e32 v132, v148                                   // 00000000B344: 7F084594
	v_rcp_f32_e32 v134, v150                                   // 00000000B348: 7F0C4596
	v_mov_b32_e32 v133, v132                                   // 00000000B34C: 7F0A0384
	v_mov_b32_e32 v135, v134                                   // 00000000B350: 7F0E0386
	v_pk_add_f32 v[108:109], v[108:109], v[92:93]              // 00000000B354: D3B2406C 1802B96C
	v_pk_add_f32 v[110:111], v[110:111], v[94:95]              // 00000000B35C: D3B2406E 1802BD6E
	v_pk_add_f32 v[112:113], v[112:113], v[96:97]              // 00000000B364: D3B24070 1802C170
	v_pk_add_f32 v[114:115], v[114:115], v[98:99]              // 00000000B36C: D3B24072 1802C572
	v_pk_add_f32 v[116:117], v[116:117], v[100:101]            // 00000000B374: D3B24074 1802C974
	v_pk_add_f32 v[118:119], v[118:119], v[102:103]            // 00000000B37C: D3B24076 1802CD76
	v_pk_add_f32 v[120:121], v[120:121], v[104:105]            // 00000000B384: D3B24078 1802D178
	v_pk_add_f32 v[122:123], v[122:123], v[106:107]            // 00000000B38C: D3B2407A 1802D57A
	s_waitcnt lgkmcnt(0)                                       // 00000000B394: BF8CC07F
	s_barrier                                                  // 00000000B398: BF8A0000
	ds_read_b128 v[28:31], v217 offset:4608                    // 00000000B39C: D9FE1200 1C0000D9
	ds_read_b128 v[32:35], v217 offset:5632                    // 00000000B3A4: D9FE1600 200000D9
	ds_read_b128 v[36:39], v217 offset:6656                    // 00000000B3AC: D9FE1A00 240000D9
	ds_read_b128 v[40:43], v217 offset:7680                    // 00000000B3B4: D9FE1E00 280000D9
	ds_read_b128 v[44:47], v217 offset:8704                    // 00000000B3BC: D9FE2200 2C0000D9
	ds_read_b128 v[48:51], v217 offset:9728                    // 00000000B3C4: D9FE2600 300000D9
	ds_read_b128 v[52:55], v217 offset:10752                   // 00000000B3CC: D9FE2A00 340000D9
	ds_read_b128 v[56:59], v217 offset:11776                   // 00000000B3D4: D9FE2E00 380000D9
	s_waitcnt vmcnt(10)                                        // 00000000B3DC: BF8C0F7A
	s_waitcnt lgkmcnt(7)                                       // 00000000B3E0: BF8CC77F
	v_mfma_f32_16x16x32_fp8_fp8 v[92:95], a[96:97], v[28:29], 0// 00000000B3E4: D3F3005C 0A023960
	v_mfma_f32_16x16x32_fp8_fp8 v[96:99], a[112:113], v[28:29], 0// 00000000B3EC: D3F30060 0A023970
	v_mfma_f32_16x16x32_fp8_fp8 v[92:95], a[98:99], v[30:31], v[92:95]// 00000000B3F4: D3F3005C 0D723D62
	buffer_load_dwordx4 a[64:67], v202, s[16:19], 0 offen      // 00000000B3FC: E05C1000 808440CA
	v_mfma_f32_16x16x32_fp8_fp8 v[96:99], a[114:115], v[30:31], v[96:99]// 00000000B404: D3F30060 0D823D72
	s_waitcnt lgkmcnt(6)                                       // 00000000B40C: BF8CC67F
	v_mfma_f32_16x16x32_fp8_fp8 v[92:95], a[100:101], v[32:33], v[92:95]// 00000000B410: D3F3005C 0D724164
	v_mfma_f32_16x16x32_fp8_fp8 v[96:99], a[116:117], v[32:33], v[96:99]// 00000000B418: D3F30060 0D824174
	v_mfma_f32_16x16x32_fp8_fp8 v[92:95], a[102:103], v[34:35], v[92:95]// 00000000B420: D3F3005C 0D724566
	buffer_load_dwordx4 a[68:71], v203, s[16:19], 0 offen      // 00000000B428: E05C1000 808444CB
	v_mfma_f32_16x16x32_fp8_fp8 v[96:99], a[118:119], v[34:35], v[96:99]// 00000000B430: D3F30060 0D824576
	s_waitcnt lgkmcnt(5)                                       // 00000000B438: BF8CC57F
	v_mfma_f32_16x16x32_fp8_fp8 v[92:95], a[104:105], v[36:37], v[92:95]// 00000000B43C: D3F3005C 0D724968
	v_mfma_f32_16x16x32_fp8_fp8 v[96:99], a[120:121], v[36:37], v[96:99]// 00000000B444: D3F30060 0D824978
	v_mfma_f32_16x16x32_fp8_fp8 v[92:95], a[106:107], v[38:39], v[92:95]// 00000000B44C: D3F3005C 0D724D6A
	buffer_load_dwordx4 a[72:75], v204, s[16:19], 0 offen      // 00000000B454: E05C1000 808448CC
	v_mfma_f32_16x16x32_fp8_fp8 v[96:99], a[122:123], v[38:39], v[96:99]// 00000000B45C: D3F30060 0D824D7A
	s_waitcnt lgkmcnt(4)                                       // 00000000B464: BF8CC47F
	v_mfma_f32_16x16x32_fp8_fp8 v[92:95], a[108:109], v[40:41], v[92:95]// 00000000B468: D3F3005C 0D72516C
	v_mfma_f32_16x16x32_fp8_fp8 v[96:99], a[124:125], v[40:41], v[96:99]// 00000000B470: D3F30060 0D82517C
	v_mfma_f32_16x16x32_fp8_fp8 v[92:95], a[110:111], v[42:43], v[92:95]// 00000000B478: D3F3005C 0D72556E
	buffer_load_dwordx4 a[76:79], v205, s[16:19], 0 offen      // 00000000B480: E05C1000 80844CCD
	v_mfma_f32_16x16x32_fp8_fp8 v[96:99], a[126:127], v[42:43], v[96:99]// 00000000B488: D3F30060 0D82557E
	s_waitcnt lgkmcnt(3)                                       // 00000000B490: BF8CC37F
	v_mfma_f32_16x16x32_fp8_fp8 v[100:103], a[96:97], v[44:45], 0// 00000000B494: D3F30064 0A025960
	v_mfma_f32_16x16x32_fp8_fp8 v[104:107], a[112:113], v[44:45], 0// 00000000B49C: D3F30068 0A025970
	v_mfma_f32_16x16x32_fp8_fp8 v[100:103], a[98:99], v[46:47], v[100:103]// 00000000B4A4: D3F30064 0D925D62
	buffer_load_dwordx4 a[80:83], v202, s[16:19], 0 offen offset:1024// 00000000B4AC: E05C1400 808450CA
	v_mfma_f32_16x16x32_fp8_fp8 v[104:107], a[114:115], v[46:47], v[104:107]// 00000000B4B4: D3F30068 0DA25D72
	s_waitcnt lgkmcnt(2)                                       // 00000000B4BC: BF8CC27F
	v_mfma_f32_16x16x32_fp8_fp8 v[100:103], a[100:101], v[48:49], v[100:103]// 00000000B4C0: D3F30064 0D926164
	v_mfma_f32_16x16x32_fp8_fp8 v[104:107], a[116:117], v[48:49], v[104:107]// 00000000B4C8: D3F30068 0DA26174
	v_mfma_f32_16x16x32_fp8_fp8 v[100:103], a[102:103], v[50:51], v[100:103]// 00000000B4D0: D3F30064 0D926566
	buffer_load_dwordx4 a[84:87], v203, s[16:19], 0 offen offset:1024// 00000000B4D8: E05C1400 808454CB
	v_mfma_f32_16x16x32_fp8_fp8 v[104:107], a[118:119], v[50:51], v[104:107]// 00000000B4E0: D3F30068 0DA26576
	s_waitcnt lgkmcnt(1)                                       // 00000000B4E8: BF8CC17F
	v_mfma_f32_16x16x32_fp8_fp8 v[100:103], a[104:105], v[52:53], v[100:103]// 00000000B4EC: D3F30064 0D926968
	v_mfma_f32_16x16x32_fp8_fp8 v[104:107], a[120:121], v[52:53], v[104:107]// 00000000B4F4: D3F30068 0DA26978
	v_mfma_f32_16x16x32_fp8_fp8 v[100:103], a[106:107], v[54:55], v[100:103]// 00000000B4FC: D3F30064 0D926D6A
	buffer_load_dwordx4 a[88:91], v204, s[16:19], 0 offen offset:1024// 00000000B504: E05C1400 808458CC
	v_mfma_f32_16x16x32_fp8_fp8 v[104:107], a[122:123], v[54:55], v[104:107]// 00000000B50C: D3F30068 0DA26D7A
	s_waitcnt lgkmcnt(0)                                       // 00000000B514: BF8CC07F
	v_mfma_f32_16x16x32_fp8_fp8 v[100:103], a[108:109], v[56:57], v[100:103]// 00000000B518: D3F30064 0D92716C
	v_mfma_f32_16x16x32_fp8_fp8 v[104:107], a[124:125], v[56:57], v[104:107]// 00000000B520: D3F30068 0DA2717C
	v_mfma_f32_16x16x32_fp8_fp8 v[100:103], a[110:111], v[58:59], v[100:103]// 00000000B528: D3F30064 0D92756E
	buffer_load_dwordx4 a[92:95], v205, s[16:19], 0 offen offset:1024// 00000000B530: E05C1400 80845CCD
	v_mfma_f32_16x16x32_fp8_fp8 v[104:107], a[126:127], v[58:59], v[104:107]// 00000000B538: D3F30068 0DA2757E
	s_addk_i32 s49, 0x100                                      // 00000000B540: B7310100
	s_branch label_2D59                                        // 00000000B544: BF820847

000000000000b548 <label_2512>:
	s_cmp_lt_i32 s49, s60                                      // 00000000B548: BF043C31
	s_cbranch_scc0 label_2D59                                  // 00000000B54C: BF840845
	s_waitcnt vmcnt(10)                                        // 00000000B550: BF8C0F7A
	v_mfma_f32_16x16x32_fp8_fp8 v[28:31], a[0:1], v[12:13], 0  // 00000000B554: D3F3001C 0A021900
	s_add_u32 s12, s84, s64                                    // 00000000B55C: 800C4054
	s_addc_u32 s13, s85, 0                                     // 00000000B560: 820D8055
	v_mfma_f32_16x16x32_fp8_fp8 v[28:31], a[2:3], v[14:15], v[28:31]// 00000000B564: D3F3001C 0C721D02
	s_add_u32 s16, s86, s65                                    // 00000000B56C: 80104156
	s_addc_u32 s17, s87, 0                                     // 00000000B570: 82118057
	v_mfma_f32_16x16x32_fp8_fp8 v[28:31], a[4:5], v[16:17], v[28:31]// 00000000B574: D3F3001C 0C722104
	buffer_load_dwordx4 a[32:35], v200, s[12:15], 0 offen      // 00000000B57C: E05C1000 808320C8
	v_mfma_f32_16x16x32_fp8_fp8 v[28:31], a[6:7], v[18:19], v[28:31]// 00000000B584: D3F3001C 0C722506
	s_add_u32 s28, s88, s66                                    // 00000000B58C: 801C4258
	s_addc_u32 s29, s89, 0                                     // 00000000B590: 821D8059
	v_mfma_f32_16x16x32_fp8_fp8 v[32:35], a[8:9], v[12:13], 0  // 00000000B594: D3F30020 0A021908
	s_add_u32 s32, s90, s66                                    // 00000000B59C: 8020425A
	s_addc_u32 s33, s91, 0                                     // 00000000B5A0: 8221805B
	v_mfma_f32_16x16x32_fp8_fp8 v[32:35], a[10:11], v[14:15], v[32:35]// 00000000B5A4: D3F30020 0C821D0A
	s_mul_i32 s64, s61, s56                                    // 00000000B5AC: 9240383D
	s_mov_b32 s65, s64                                         // 00000000B5B0: BEC10040
	v_mfma_f32_16x16x32_fp8_fp8 v[32:35], a[12:13], v[16:17], v[32:35]// 00000000B5B4: D3F30020 0C82210C
	buffer_load_dwordx4 a[36:39], v201, s[12:15], 0 offen      // 00000000B5BC: E05C1000 808324C9
	v_mfma_f32_16x16x32_fp8_fp8 v[32:35], a[14:15], v[18:19], v[32:35]// 00000000B5C4: D3F30020 0C82250E
	s_mul_i32 s66, s61, s58                                    // 00000000B5CC: 92423A3D
	v_mfma_f32_16x16x32_fp8_fp8 v[36:39], a[16:17], v[12:13], 0// 00000000B5D0: D3F30024 0A021910
	v_mfma_f32_16x16x32_fp8_fp8 v[36:39], a[18:19], v[14:15], v[36:39]// 00000000B5D8: D3F30024 0C921D12
	v_mfma_f32_16x16x32_fp8_fp8 v[36:39], a[20:21], v[16:17], v[36:39]// 00000000B5E0: D3F30024 0C922114
	buffer_load_dwordx4 a[40:43], v200, s[12:15], 0 offen offset:1024// 00000000B5E8: E05C1400 808328C8
	v_mfma_f32_16x16x32_fp8_fp8 v[36:39], a[22:23], v[18:19], v[36:39]// 00000000B5F0: D3F30024 0C922516
	v_mfma_f32_16x16x32_fp8_fp8 v[40:43], a[24:25], v[12:13], 0// 00000000B5F8: D3F30028 0A021918
	v_mfma_f32_16x16x32_fp8_fp8 v[40:43], a[26:27], v[14:15], v[40:43]// 00000000B600: D3F30028 0CA21D1A
	v_mfma_f32_16x16x32_fp8_fp8 v[40:43], a[28:29], v[16:17], v[40:43]// 00000000B608: D3F30028 0CA2211C
	buffer_load_dwordx4 a[44:47], v201, s[12:15], 0 offen offset:1024// 00000000B610: E05C1400 80832CC9
	v_mfma_f32_16x16x32_fp8_fp8 v[40:43], a[30:31], v[18:19], v[40:43]// 00000000B618: D3F30028 0CA2251E
	v_mfma_f32_16x16x32_fp8_fp8 v[44:47], a[0:1], v[20:21], 0  // 00000000B620: D3F3002C 0A022900
	v_mfma_f32_16x16x32_fp8_fp8 v[44:47], a[2:3], v[22:23], v[44:47]// 00000000B628: D3F3002C 0CB22D02
	v_mfma_f32_16x16x32_fp8_fp8 v[44:47], a[4:5], v[24:25], v[44:47]// 00000000B630: D3F3002C 0CB23104
	buffer_load_dwordx4 a[48:51], v200, s[12:15], 0 offen offset:2048// 00000000B638: E05C1800 808330C8
	v_mfma_f32_16x16x32_fp8_fp8 v[44:47], a[6:7], v[26:27], v[44:47]// 00000000B640: D3F3002C 0CB23506
	v_mfma_f32_16x16x32_fp8_fp8 v[48:51], a[8:9], v[20:21], 0  // 00000000B648: D3F30030 0A022908
	v_mfma_f32_16x16x32_fp8_fp8 v[48:51], a[10:11], v[22:23], v[48:51]// 00000000B650: D3F30030 0CC22D0A
	v_mfma_f32_16x16x32_fp8_fp8 v[48:51], a[12:13], v[24:25], v[48:51]// 00000000B658: D3F30030 0CC2310C
	buffer_load_dwordx4 a[52:55], v201, s[12:15], 0 offen offset:2048// 00000000B660: E05C1800 808334C9
	v_mfma_f32_16x16x32_fp8_fp8 v[48:51], a[14:15], v[26:27], v[48:51]// 00000000B668: D3F30030 0CC2350E
	v_mfma_f32_16x16x32_fp8_fp8 v[52:55], a[16:17], v[20:21], 0// 00000000B670: D3F30034 0A022910
	v_mfma_f32_16x16x32_fp8_fp8 v[52:55], a[18:19], v[22:23], v[52:55]// 00000000B678: D3F30034 0CD22D12
	v_mfma_f32_16x16x32_fp8_fp8 v[52:55], a[20:21], v[24:25], v[52:55]// 00000000B680: D3F30034 0CD23114
	buffer_load_dwordx4 a[56:59], v200, s[12:15], 0 offen offset:3072// 00000000B688: E05C1C00 808338C8
	v_mfma_f32_16x16x32_fp8_fp8 v[52:55], a[22:23], v[26:27], v[52:55]// 00000000B690: D3F30034 0CD23516
	v_mfma_f32_16x16x32_fp8_fp8 v[56:59], a[24:25], v[20:21], 0// 00000000B698: D3F30038 0A022918
	v_mfma_f32_16x16x32_fp8_fp8 v[56:59], a[26:27], v[22:23], v[56:59]// 00000000B6A0: D3F30038 0CE22D1A
	v_mfma_f32_16x16x32_fp8_fp8 v[56:59], a[28:29], v[24:25], v[56:59]// 00000000B6A8: D3F30038 0CE2311C
	buffer_load_dwordx4 a[60:63], v201, s[12:15], 0 offen offset:3072// 00000000B6B0: E05C1C00 80833CC9
	v_mfma_f32_16x16x32_fp8_fp8 v[56:59], a[30:31], v[26:27], v[56:59]// 00000000B6B8: D3F30038 0CE2351E
	s_waitcnt vmcnt(16)                                        // 00000000B6C0: BF8C4F70
	v_pk_mul_f32 v[28:29], v[124:125], v[28:29]                // 00000000B6C4: D3B1401C 1802397C
	v_pk_mul_f32 v[30:31], v[124:125], v[30:31]                // 00000000B6CC: D3B1401E 18023D7C
	v_mul_f32_dpp v28, v128, v28 row_newbcast:0 row_mask:0xf bank_mask:0xf// 00000000B6D4: 0A3838FA FF015080
	v_mul_f32_dpp v29, v128, v29 row_newbcast:1 row_mask:0xf bank_mask:0xf// 00000000B6DC: 0A3A3AFA FF015180
	v_mul_f32_dpp v30, v128, v30 row_newbcast:2 row_mask:0xf bank_mask:0xf// 00000000B6E4: 0A3C3CFA FF015280
	v_mul_f32_dpp v31, v128, v31 row_newbcast:3 row_mask:0xf bank_mask:0xf// 00000000B6EC: 0A3E3EFA FF015380
	v_pk_mul_f32 v[32:33], v[124:125], v[32:33]                // 00000000B6F4: D3B14020 1802417C
	v_pk_mul_f32 v[34:35], v[124:125], v[34:35]                // 00000000B6FC: D3B14022 1802457C
	v_mul_f32_dpp v32, v128, v32 row_newbcast:4 row_mask:0xf bank_mask:0xf// 00000000B704: 0A4040FA FF015480
	v_mul_f32_dpp v33, v128, v33 row_newbcast:5 row_mask:0xf bank_mask:0xf// 00000000B70C: 0A4242FA FF015580
	v_mul_f32_dpp v34, v128, v34 row_newbcast:6 row_mask:0xf bank_mask:0xf// 00000000B714: 0A4444FA FF015680
	v_mul_f32_dpp v35, v128, v35 row_newbcast:7 row_mask:0xf bank_mask:0xf// 00000000B71C: 0A4646FA FF015780
	v_pk_mul_f32 v[36:37], v[124:125], v[36:37]                // 00000000B724: D3B14024 1802497C
	v_pk_mul_f32 v[38:39], v[124:125], v[38:39]                // 00000000B72C: D3B14026 18024D7C
	v_mul_f32_dpp v36, v128, v36 row_newbcast:8 row_mask:0xf bank_mask:0xf// 00000000B734: 0A4848FA FF015880
	v_mul_f32_dpp v37, v128, v37 row_newbcast:9 row_mask:0xf bank_mask:0xf// 00000000B73C: 0A4A4AFA FF015980
	v_mul_f32_dpp v38, v128, v38 row_newbcast:10 row_mask:0xf bank_mask:0xf// 00000000B744: 0A4C4CFA FF015A80
	v_mul_f32_dpp v39, v128, v39 row_newbcast:11 row_mask:0xf bank_mask:0xf// 00000000B74C: 0A4E4EFA FF015B80
	v_pk_mul_f32 v[40:41], v[124:125], v[40:41]                // 00000000B754: D3B14028 1802517C
	v_pk_mul_f32 v[42:43], v[124:125], v[42:43]                // 00000000B75C: D3B1402A 1802557C
	v_mul_f32_dpp v40, v128, v40 row_newbcast:12 row_mask:0xf bank_mask:0xf// 00000000B764: 0A5050FA FF015C80
	v_mul_f32_dpp v41, v128, v41 row_newbcast:13 row_mask:0xf bank_mask:0xf// 00000000B76C: 0A5252FA FF015D80
	v_mul_f32_dpp v42, v128, v42 row_newbcast:14 row_mask:0xf bank_mask:0xf// 00000000B774: 0A5454FA FF015E80
	v_mul_f32_dpp v43, v128, v43 row_newbcast:15 row_mask:0xf bank_mask:0xf// 00000000B77C: 0A5656FA FF015F80
	v_pk_mul_f32 v[44:45], v[126:127], v[44:45]                // 00000000B784: D3B1402C 1802597E
	v_pk_mul_f32 v[46:47], v[126:127], v[46:47]                // 00000000B78C: D3B1402E 18025D7E
	v_mul_f32_dpp v44, v128, v44 row_newbcast:0 row_mask:0xf bank_mask:0xf// 00000000B794: 0A5858FA FF015080
	v_mul_f32_dpp v45, v128, v45 row_newbcast:1 row_mask:0xf bank_mask:0xf// 00000000B79C: 0A5A5AFA FF015180
	v_mul_f32_dpp v46, v128, v46 row_newbcast:2 row_mask:0xf bank_mask:0xf// 00000000B7A4: 0A5C5CFA FF015280
	v_mul_f32_dpp v47, v128, v47 row_newbcast:3 row_mask:0xf bank_mask:0xf// 00000000B7AC: 0A5E5EFA FF015380
	v_pk_mul_f32 v[48:49], v[126:127], v[48:49]                // 00000000B7B4: D3B14030 1802617E
	v_pk_mul_f32 v[50:51], v[126:127], v[50:51]                // 00000000B7BC: D3B14032 1802657E
	v_mul_f32_dpp v48, v128, v48 row_newbcast:4 row_mask:0xf bank_mask:0xf// 00000000B7C4: 0A6060FA FF015480
	v_mul_f32_dpp v49, v128, v49 row_newbcast:5 row_mask:0xf bank_mask:0xf// 00000000B7CC: 0A6262FA FF015580
	v_mul_f32_dpp v50, v128, v50 row_newbcast:6 row_mask:0xf bank_mask:0xf// 00000000B7D4: 0A6464FA FF015680
	v_mul_f32_dpp v51, v128, v51 row_newbcast:7 row_mask:0xf bank_mask:0xf// 00000000B7DC: 0A6666FA FF015780
	v_pk_mul_f32 v[52:53], v[126:127], v[52:53]                // 00000000B7E4: D3B14034 1802697E
	v_pk_mul_f32 v[54:55], v[126:127], v[54:55]                // 00000000B7EC: D3B14036 18026D7E
	v_mul_f32_dpp v52, v128, v52 row_newbcast:8 row_mask:0xf bank_mask:0xf// 00000000B7F4: 0A6868FA FF015880
	v_mul_f32_dpp v53, v128, v53 row_newbcast:9 row_mask:0xf bank_mask:0xf// 00000000B7FC: 0A6A6AFA FF015980
	v_mul_f32_dpp v54, v128, v54 row_newbcast:10 row_mask:0xf bank_mask:0xf// 00000000B804: 0A6C6CFA FF015A80
	v_mul_f32_dpp v55, v128, v55 row_newbcast:11 row_mask:0xf bank_mask:0xf// 00000000B80C: 0A6E6EFA FF015B80
	v_pk_mul_f32 v[56:57], v[126:127], v[56:57]                // 00000000B814: D3B14038 1802717E
	v_pk_mul_f32 v[58:59], v[126:127], v[58:59]                // 00000000B81C: D3B1403A 1802757E
	v_mul_f32_dpp v56, v128, v56 row_newbcast:12 row_mask:0xf bank_mask:0xf// 00000000B824: 0A7070FA FF015C80
	v_mul_f32_dpp v57, v128, v57 row_newbcast:13 row_mask:0xf bank_mask:0xf// 00000000B82C: 0A7272FA FF015D80
	v_mul_f32_dpp v58, v128, v58 row_newbcast:14 row_mask:0xf bank_mask:0xf// 00000000B834: 0A7474FA FF015E80
	v_mul_f32_dpp v59, v128, v59 row_newbcast:15 row_mask:0xf bank_mask:0xf// 00000000B83C: 0A7676FA FF015F80
	v_add_u32_e32 v184, s49, v194                              // 00000000B844: 69718431
	v_add_u32_e32 v185, 0, v184                                // 00000000B848: 69737080
	v_cmp_lt_u32_e64 s[92:93], v185, v192                      // 00000000B84C: D0C9005C 000381B9
	s_nop 0                                                    // 00000000B854: BF800000
	v_cndmask_b32_e64 v28, v195, v28, s[92:93]                 // 00000000B858: D100001C 017239C3
	v_add_u32_e32 v185, 1, v184                                // 00000000B860: 69737081
	v_cmp_lt_u32_e64 s[92:93], v185, v192                      // 00000000B864: D0C9005C 000381B9
	s_nop 0                                                    // 00000000B86C: BF800000
	v_cndmask_b32_e64 v29, v195, v29, s[92:93]                 // 00000000B870: D100001D 01723BC3
	v_add_u32_e32 v185, 2, v184                                // 00000000B878: 69737082
	v_cmp_lt_u32_e64 s[92:93], v185, v192                      // 00000000B87C: D0C9005C 000381B9
	s_nop 0                                                    // 00000000B884: BF800000
	v_cndmask_b32_e64 v30, v195, v30, s[92:93]                 // 00000000B888: D100001E 01723DC3
	v_add_u32_e32 v185, 3, v184                                // 00000000B890: 69737083
	v_cmp_lt_u32_e64 s[92:93], v185, v192                      // 00000000B894: D0C9005C 000381B9
	s_nop 0                                                    // 00000000B89C: BF800000
	v_cndmask_b32_e64 v31, v195, v31, s[92:93]                 // 00000000B8A0: D100001F 01723FC3
	v_add_u32_e32 v185, 64, v184                               // 00000000B8A8: 697370C0
	v_cmp_lt_u32_e64 s[92:93], v185, v192                      // 00000000B8AC: D0C9005C 000381B9
	s_nop 0                                                    // 00000000B8B4: BF800000
	v_cndmask_b32_e64 v32, v195, v32, s[92:93]                 // 00000000B8B8: D1000020 017241C3
	v_add_u32_e32 v185, 0x41, v184                             // 00000000B8C0: 697370FF 00000041
	v_cmp_lt_u32_e64 s[92:93], v185, v192                      // 00000000B8C8: D0C9005C 000381B9
	s_nop 0                                                    // 00000000B8D0: BF800000
	v_cndmask_b32_e64 v33, v195, v33, s[92:93]                 // 00000000B8D4: D1000021 017243C3
	v_add_u32_e32 v185, 0x42, v184                             // 00000000B8DC: 697370FF 00000042
	v_cmp_lt_u32_e64 s[92:93], v185, v192                      // 00000000B8E4: D0C9005C 000381B9
	s_nop 0                                                    // 00000000B8EC: BF800000
	v_cndmask_b32_e64 v34, v195, v34, s[92:93]                 // 00000000B8F0: D1000022 017245C3
	v_add_u32_e32 v185, 0x43, v184                             // 00000000B8F8: 697370FF 00000043
	v_cmp_lt_u32_e64 s[92:93], v185, v192                      // 00000000B900: D0C9005C 000381B9
	s_nop 0                                                    // 00000000B908: BF800000
	v_cndmask_b32_e64 v35, v195, v35, s[92:93]                 // 00000000B90C: D1000023 017247C3
	v_add_u32_e32 v185, 0x80, v184                             // 00000000B914: 697370FF 00000080
	v_cmp_lt_u32_e64 s[92:93], v185, v192                      // 00000000B91C: D0C9005C 000381B9
	s_nop 0                                                    // 00000000B924: BF800000
	v_cndmask_b32_e64 v36, v195, v36, s[92:93]                 // 00000000B928: D1000024 017249C3
	v_add_u32_e32 v185, 0x81, v184                             // 00000000B930: 697370FF 00000081
	v_cmp_lt_u32_e64 s[92:93], v185, v192                      // 00000000B938: D0C9005C 000381B9
	s_nop 0                                                    // 00000000B940: BF800000
	v_cndmask_b32_e64 v37, v195, v37, s[92:93]                 // 00000000B944: D1000025 01724BC3
	v_add_u32_e32 v185, 0x82, v184                             // 00000000B94C: 697370FF 00000082
	v_cmp_lt_u32_e64 s[92:93], v185, v192                      // 00000000B954: D0C9005C 000381B9
	s_nop 0                                                    // 00000000B95C: BF800000
	v_cndmask_b32_e64 v38, v195, v38, s[92:93]                 // 00000000B960: D1000026 01724DC3
	v_add_u32_e32 v185, 0x83, v184                             // 00000000B968: 697370FF 00000083
	v_cmp_lt_u32_e64 s[92:93], v185, v192                      // 00000000B970: D0C9005C 000381B9
	s_nop 0                                                    // 00000000B978: BF800000
	v_cndmask_b32_e64 v39, v195, v39, s[92:93]                 // 00000000B97C: D1000027 01724FC3
	v_add_u32_e32 v185, 0xc0, v184                             // 00000000B984: 697370FF 000000C0
	v_cmp_lt_u32_e64 s[92:93], v185, v192                      // 00000000B98C: D0C9005C 000381B9
	s_nop 0                                                    // 00000000B994: BF800000
	v_cndmask_b32_e64 v40, v195, v40, s[92:93]                 // 00000000B998: D1000028 017251C3
	v_add_u32_e32 v185, 0xc1, v184                             // 00000000B9A0: 697370FF 000000C1
	v_cmp_lt_u32_e64 s[92:93], v185, v192                      // 00000000B9A8: D0C9005C 000381B9
	s_nop 0                                                    // 00000000B9B0: BF800000
	v_cndmask_b32_e64 v41, v195, v41, s[92:93]                 // 00000000B9B4: D1000029 017253C3
	v_add_u32_e32 v185, 0xc2, v184                             // 00000000B9BC: 697370FF 000000C2
	v_cmp_lt_u32_e64 s[92:93], v185, v192                      // 00000000B9C4: D0C9005C 000381B9
	s_nop 0                                                    // 00000000B9CC: BF800000
	v_cndmask_b32_e64 v42, v195, v42, s[92:93]                 // 00000000B9D0: D100002A 017255C3
	v_add_u32_e32 v185, 0xc3, v184                             // 00000000B9D8: 697370FF 000000C3
	v_cmp_lt_u32_e64 s[92:93], v185, v192                      // 00000000B9E0: D0C9005C 000381B9
	s_nop 0                                                    // 00000000B9E8: BF800000
	v_cndmask_b32_e64 v43, v195, v43, s[92:93]                 // 00000000B9EC: D100002B 017257C3
	v_add_u32_e32 v185, 0, v184                                // 00000000B9F4: 69737080
	v_cmp_lt_u32_e64 s[92:93], v185, v193                      // 00000000B9F8: D0C9005C 000383B9
	s_nop 0                                                    // 00000000BA00: BF800000
	v_cndmask_b32_e64 v44, v195, v44, s[92:93]                 // 00000000BA04: D100002C 017259C3
	v_add_u32_e32 v185, 1, v184                                // 00000000BA0C: 69737081
	v_cmp_lt_u32_e64 s[92:93], v185, v193                      // 00000000BA10: D0C9005C 000383B9
	s_nop 0                                                    // 00000000BA18: BF800000
	v_cndmask_b32_e64 v45, v195, v45, s[92:93]                 // 00000000BA1C: D100002D 01725BC3
	v_add_u32_e32 v185, 2, v184                                // 00000000BA24: 69737082
	v_cmp_lt_u32_e64 s[92:93], v185, v193                      // 00000000BA28: D0C9005C 000383B9
	s_nop 0                                                    // 00000000BA30: BF800000
	v_cndmask_b32_e64 v46, v195, v46, s[92:93]                 // 00000000BA34: D100002E 01725DC3
	v_add_u32_e32 v185, 3, v184                                // 00000000BA3C: 69737083
	v_cmp_lt_u32_e64 s[92:93], v185, v193                      // 00000000BA40: D0C9005C 000383B9
	s_nop 0                                                    // 00000000BA48: BF800000
	v_cndmask_b32_e64 v47, v195, v47, s[92:93]                 // 00000000BA4C: D100002F 01725FC3
	v_add_u32_e32 v185, 64, v184                               // 00000000BA54: 697370C0
	v_cmp_lt_u32_e64 s[92:93], v185, v193                      // 00000000BA58: D0C9005C 000383B9
	s_nop 0                                                    // 00000000BA60: BF800000
	v_cndmask_b32_e64 v48, v195, v48, s[92:93]                 // 00000000BA64: D1000030 017261C3
	v_add_u32_e32 v185, 0x41, v184                             // 00000000BA6C: 697370FF 00000041
	v_cmp_lt_u32_e64 s[92:93], v185, v193                      // 00000000BA74: D0C9005C 000383B9
	s_nop 0                                                    // 00000000BA7C: BF800000
	v_cndmask_b32_e64 v49, v195, v49, s[92:93]                 // 00000000BA80: D1000031 017263C3
	v_add_u32_e32 v185, 0x42, v184                             // 00000000BA88: 697370FF 00000042
	v_cmp_lt_u32_e64 s[92:93], v185, v193                      // 00000000BA90: D0C9005C 000383B9
	s_nop 0                                                    // 00000000BA98: BF800000
	v_cndmask_b32_e64 v50, v195, v50, s[92:93]                 // 00000000BA9C: D1000032 017265C3
	v_add_u32_e32 v185, 0x43, v184                             // 00000000BAA4: 697370FF 00000043
	v_cmp_lt_u32_e64 s[92:93], v185, v193                      // 00000000BAAC: D0C9005C 000383B9
	s_nop 0                                                    // 00000000BAB4: BF800000
	v_cndmask_b32_e64 v51, v195, v51, s[92:93]                 // 00000000BAB8: D1000033 017267C3
	v_add_u32_e32 v185, 0x80, v184                             // 00000000BAC0: 697370FF 00000080
	v_cmp_lt_u32_e64 s[92:93], v185, v193                      // 00000000BAC8: D0C9005C 000383B9
	s_nop 0                                                    // 00000000BAD0: BF800000
	v_cndmask_b32_e64 v52, v195, v52, s[92:93]                 // 00000000BAD4: D1000034 017269C3
	v_add_u32_e32 v185, 0x81, v184                             // 00000000BADC: 697370FF 00000081
	v_cmp_lt_u32_e64 s[92:93], v185, v193                      // 00000000BAE4: D0C9005C 000383B9
	s_nop 0                                                    // 00000000BAEC: BF800000
	v_cndmask_b32_e64 v53, v195, v53, s[92:93]                 // 00000000BAF0: D1000035 01726BC3
	v_add_u32_e32 v185, 0x82, v184                             // 00000000BAF8: 697370FF 00000082
	v_cmp_lt_u32_e64 s[92:93], v185, v193                      // 00000000BB00: D0C9005C 000383B9
	s_nop 0                                                    // 00000000BB08: BF800000
	v_cndmask_b32_e64 v54, v195, v54, s[92:93]                 // 00000000BB0C: D1000036 01726DC3
	v_add_u32_e32 v185, 0x83, v184                             // 00000000BB14: 697370FF 00000083
	v_cmp_lt_u32_e64 s[92:93], v185, v193                      // 00000000BB1C: D0C9005C 000383B9
	s_nop 0                                                    // 00000000BB24: BF800000
	v_cndmask_b32_e64 v55, v195, v55, s[92:93]                 // 00000000BB28: D1000037 01726FC3
	v_add_u32_e32 v185, 0xc0, v184                             // 00000000BB30: 697370FF 000000C0
	v_cmp_lt_u32_e64 s[92:93], v185, v193                      // 00000000BB38: D0C9005C 000383B9
	s_nop 0                                                    // 00000000BB40: BF800000
	v_cndmask_b32_e64 v56, v195, v56, s[92:93]                 // 00000000BB44: D1000038 017271C3
	v_add_u32_e32 v185, 0xc1, v184                             // 00000000BB4C: 697370FF 000000C1
	v_cmp_lt_u32_e64 s[92:93], v185, v193                      // 00000000BB54: D0C9005C 000383B9
	s_nop 0                                                    // 00000000BB5C: BF800000
	v_cndmask_b32_e64 v57, v195, v57, s[92:93]                 // 00000000BB60: D1000039 017273C3
	v_add_u32_e32 v185, 0xc2, v184                             // 00000000BB68: 697370FF 000000C2
	v_cmp_lt_u32_e64 s[92:93], v185, v193                      // 00000000BB70: D0C9005C 000383B9
	s_nop 0                                                    // 00000000BB78: BF800000
	v_cndmask_b32_e64 v58, v195, v58, s[92:93]                 // 00000000BB7C: D100003A 017275C3
	v_add_u32_e32 v185, 0xc3, v184                             // 00000000BB84: 697370FF 000000C3
	v_cmp_lt_u32_e64 s[92:93], v185, v193                      // 00000000BB8C: D0C9005C 000383B9
	s_nop 0                                                    // 00000000BB94: BF800000
	v_cndmask_b32_e64 v59, v195, v59, s[92:93]                 // 00000000BB98: D100003B 017277C3
	v_mov_b32_e32 v148, v28                                    // 00000000BBA0: 7F28031C
	v_max3_f32 v148, v28, v29, v148                            // 00000000BBA4: D1D30094 06523B1C
	v_max3_f32 v148, v30, v31, v148                            // 00000000BBAC: D1D30094 06523F1E
	v_max3_f32 v148, v32, v33, v148                            // 00000000BBB4: D1D30094 06524320
	v_max3_f32 v148, v34, v35, v148                            // 00000000BBBC: D1D30094 06524722
	v_max3_f32 v148, v36, v37, v148                            // 00000000BBC4: D1D30094 06524B24
	v_max3_f32 v148, v38, v39, v148                            // 00000000BBCC: D1D30094 06524F26
	v_max3_f32 v148, v40, v41, v148                            // 00000000BBD4: D1D30094 06525328
	v_max3_f32 v148, v42, v43, v148                            // 00000000BBDC: D1D30094 0652572A
	v_mov_b32_e32 v149, v44                                    // 00000000BBE4: 7F2A032C
	v_max3_f32 v149, v44, v45, v149                            // 00000000BBE8: D1D30095 06565B2C
	v_max3_f32 v149, v46, v47, v149                            // 00000000BBF0: D1D30095 06565F2E
	v_max3_f32 v149, v48, v49, v149                            // 00000000BBF8: D1D30095 06566330
	v_max3_f32 v149, v50, v51, v149                            // 00000000BC00: D1D30095 06566732
	v_max3_f32 v149, v52, v53, v149                            // 00000000BC08: D1D30095 06566B34
	v_max3_f32 v149, v54, v55, v149                            // 00000000BC10: D1D30095 06566F36
	v_max3_f32 v149, v56, v57, v149                            // 00000000BC18: D1D30095 06567338
	v_max3_f32 v149, v58, v59, v149                            // 00000000BC20: D1D30095 0656773A
	ds_write_b64 v214, v[148:149]                              // 00000000BC28: D89A0000 000094D6
	v_pk_mul_f32 v[108:109], v[140:141], v[108:109]            // 00000000BC30: D3B1406C 1802D98C
	v_pk_mul_f32 v[110:111], v[140:141], v[110:111]            // 00000000BC38: D3B1406E 1802DD8C
	v_pk_mul_f32 v[112:113], v[140:141], v[112:113]            // 00000000BC40: D3B14070 1802E18C
	v_pk_mul_f32 v[114:115], v[140:141], v[114:115]            // 00000000BC48: D3B14072 1802E58C
	v_pk_mul_f32 v[116:117], v[142:143], v[116:117]            // 00000000BC50: D3B14074 1802E98E
	v_pk_mul_f32 v[118:119], v[142:143], v[118:119]            // 00000000BC58: D3B14076 1802ED8E
	v_pk_mul_f32 v[120:121], v[142:143], v[120:121]            // 00000000BC60: D3B14078 1802F18E
	v_pk_mul_f32 v[122:123], v[142:143], v[122:123]            // 00000000BC68: D3B1407A 1802F58E
	s_waitcnt lgkmcnt(0)                                       // 00000000BC70: BF8CC07F
	s_barrier                                                  // 00000000BC74: BF8A0000
	ds_read_b64 v[152:153], v215                               // 00000000BC78: D8EC0000 980000D7
	ds_read_b64 v[154:155], v215 offset:128                    // 00000000BC80: D8EC0080 9A0000D7
	ds_read_b64 v[156:157], v215 offset:256                    // 00000000BC88: D8EC0100 9C0000D7
	ds_read_b64 v[158:159], v215 offset:384                    // 00000000BC90: D8EC0180 9E0000D7
	ds_read_b64 v[160:161], v215 offset:512                    // 00000000BC98: D8EC0200 A00000D7
	ds_read_b64 v[162:163], v215 offset:640                    // 00000000BCA0: D8EC0280 A20000D7
	ds_read_b64 v[164:165], v215 offset:768                    // 00000000BCA8: D8EC0300 A40000D7
	ds_read_b64 v[166:167], v215 offset:896                    // 00000000BCB0: D8EC0380 A60000D7
	ds_read_b64 v[168:169], v215 offset:1024                   // 00000000BCB8: D8EC0400 A80000D7
	ds_read_b64 v[170:171], v215 offset:1152                   // 00000000BCC0: D8EC0480 AA0000D7
	ds_read_b64 v[172:173], v215 offset:1280                   // 00000000BCC8: D8EC0500 AC0000D7
	ds_read_b64 v[174:175], v215 offset:1408                   // 00000000BCD0: D8EC0580 AE0000D7
	ds_read_b64 v[176:177], v215 offset:1536                   // 00000000BCD8: D8EC0600 B00000D7
	ds_read_b64 v[178:179], v215 offset:1664                   // 00000000BCE0: D8EC0680 B20000D7
	ds_read_b64 v[180:181], v215 offset:1792                   // 00000000BCE8: D8EC0700 B40000D7
	ds_read_b64 v[182:183], v215 offset:1920                   // 00000000BCF0: D8EC0780 B60000D7
	v_pk_mul_f32 v[92:93], v[132:133], v[92:93]                // 00000000BCF8: D3B1405C 1802B984
	v_pk_mul_f32 v[94:95], v[132:133], v[94:95]                // 00000000BD00: D3B1405E 1802BD84
	v_pk_mul_f32 v[96:97], v[132:133], v[96:97]                // 00000000BD08: D3B14060 1802C184
	v_pk_mul_f32 v[98:99], v[132:133], v[98:99]                // 00000000BD10: D3B14062 1802C584
	v_pk_mul_f32 v[100:101], v[134:135], v[100:101]            // 00000000BD18: D3B14064 1802C986
	v_pk_mul_f32 v[102:103], v[134:135], v[102:103]            // 00000000BD20: D3B14066 1802CD86
	v_pk_mul_f32 v[104:105], v[134:135], v[104:105]            // 00000000BD28: D3B14068 1802D186
	v_pk_mul_f32 v[106:107], v[134:135], v[106:107]            // 00000000BD30: D3B1406A 1802D586
	s_waitcnt lgkmcnt(0)                                       // 00000000BD38: BF8CC07F
	v_max3_f32 v148, v152, v154, v148                          // 00000000BD3C: D1D30094 06533598
	v_max3_f32 v149, v153, v155, v149                          // 00000000BD44: D1D30095 06573799
	v_max3_f32 v148, v156, v158, v148                          // 00000000BD4C: D1D30094 06533D9C
	v_max3_f32 v149, v157, v159, v149                          // 00000000BD54: D1D30095 06573F9D
	v_max3_f32 v148, v160, v162, v148                          // 00000000BD5C: D1D30094 065345A0
	v_max3_f32 v149, v161, v163, v149                          // 00000000BD64: D1D30095 065747A1
	v_max3_f32 v148, v164, v166, v148                          // 00000000BD6C: D1D30094 06534DA4
	v_max3_f32 v149, v165, v167, v149                          // 00000000BD74: D1D30095 06574FA5
	v_max3_f32 v148, v168, v170, v148                          // 00000000BD7C: D1D30094 065355A8
	v_max3_f32 v149, v169, v171, v149                          // 00000000BD84: D1D30095 065757A9
	v_max3_f32 v148, v172, v174, v148                          // 00000000BD8C: D1D30094 06535DAC
	v_max3_f32 v149, v173, v175, v149                          // 00000000BD94: D1D30095 06575FAD
	v_max3_f32 v148, v176, v178, v148                          // 00000000BD9C: D1D30094 065365B0
	v_max3_f32 v149, v177, v179, v149                          // 00000000BDA4: D1D30095 065767B1
	v_max3_f32 v148, v180, v182, v148                          // 00000000BDAC: D1D30094 06536DB4
	v_max3_f32 v149, v181, v183, v149                          // 00000000BDB4: D1D30095 06576FB5
	v_max_f32_e32 v138, v148, v136                             // 00000000BDBC: 17151194
	v_mul_f32_e64 v184, -s51, v138                             // 00000000BDC0: D10500B8 20031433
	v_mov_b32_e32 v185, v184                                   // 00000000BDC8: 7F7203B8
	v_pk_fma_f32 v[28:29], v[28:29], s[68:69], v[184:185]      // 00000000BDCC: D3B0401C 1EE0891C
	v_pk_fma_f32 v[30:31], v[30:31], s[68:69], v[184:185]      // 00000000BDD4: D3B0401E 1EE0891E
	v_exp_f32_e32 v28, v28                                     // 00000000BDDC: 7E38411C
	v_exp_f32_e32 v29, v29                                     // 00000000BDE0: 7E3A411D
	v_exp_f32_e32 v30, v30                                     // 00000000BDE4: 7E3C411E
	v_exp_f32_e32 v31, v31                                     // 00000000BDE8: 7E3E411F
	v_pk_fma_f32 v[32:33], v[32:33], s[68:69], v[184:185]      // 00000000BDEC: D3B04020 1EE08920
	v_pk_fma_f32 v[34:35], v[34:35], s[68:69], v[184:185]      // 00000000BDF4: D3B04022 1EE08922
	v_exp_f32_e32 v32, v32                                     // 00000000BDFC: 7E404120
	v_exp_f32_e32 v33, v33                                     // 00000000BE00: 7E424121
	v_exp_f32_e32 v34, v34                                     // 00000000BE04: 7E444122
	v_exp_f32_e32 v35, v35                                     // 00000000BE08: 7E464123
	v_pk_fma_f32 v[36:37], v[36:37], s[68:69], v[184:185]      // 00000000BE0C: D3B04024 1EE08924
	v_pk_fma_f32 v[38:39], v[38:39], s[68:69], v[184:185]      // 00000000BE14: D3B04026 1EE08926
	v_exp_f32_e32 v36, v36                                     // 00000000BE1C: 7E484124
	v_exp_f32_e32 v37, v37                                     // 00000000BE20: 7E4A4125
	v_exp_f32_e32 v38, v38                                     // 00000000BE24: 7E4C4126
	v_exp_f32_e32 v39, v39                                     // 00000000BE28: 7E4E4127
	v_pk_fma_f32 v[40:41], v[40:41], s[68:69], v[184:185]      // 00000000BE2C: D3B04028 1EE08928
	v_pk_fma_f32 v[42:43], v[42:43], s[68:69], v[184:185]      // 00000000BE34: D3B0402A 1EE0892A
	v_exp_f32_e32 v40, v40                                     // 00000000BE3C: 7E504128
	v_exp_f32_e32 v41, v41                                     // 00000000BE40: 7E524129
	v_exp_f32_e32 v42, v42                                     // 00000000BE44: 7E54412A
	v_exp_f32_e32 v43, v43                                     // 00000000BE48: 7E56412B
	v_max_f32_e32 v139, v149, v137                             // 00000000BE4C: 17171395
	v_mul_f32_e64 v184, -s51, v139                             // 00000000BE50: D10500B8 20031633
	v_mov_b32_e32 v185, v184                                   // 00000000BE58: 7F7203B8
	v_pk_fma_f32 v[44:45], v[44:45], s[68:69], v[184:185]      // 00000000BE5C: D3B0402C 1EE0892C
	v_pk_fma_f32 v[46:47], v[46:47], s[68:69], v[184:185]      // 00000000BE64: D3B0402E 1EE0892E
	v_exp_f32_e32 v44, v44                                     // 00000000BE6C: 7E58412C
	v_exp_f32_e32 v45, v45                                     // 00000000BE70: 7E5A412D
	v_exp_f32_e32 v46, v46                                     // 00000000BE74: 7E5C412E
	v_exp_f32_e32 v47, v47                                     // 00000000BE78: 7E5E412F
	v_pk_fma_f32 v[48:49], v[48:49], s[68:69], v[184:185]      // 00000000BE7C: D3B04030 1EE08930
	v_pk_fma_f32 v[50:51], v[50:51], s[68:69], v[184:185]      // 00000000BE84: D3B04032 1EE08932
	v_exp_f32_e32 v48, v48                                     // 00000000BE8C: 7E604130
	v_exp_f32_e32 v49, v49                                     // 00000000BE90: 7E624131
	v_exp_f32_e32 v50, v50                                     // 00000000BE94: 7E644132
	v_exp_f32_e32 v51, v51                                     // 00000000BE98: 7E664133
	v_pk_fma_f32 v[52:53], v[52:53], s[68:69], v[184:185]      // 00000000BE9C: D3B04034 1EE08934
	v_pk_fma_f32 v[54:55], v[54:55], s[68:69], v[184:185]      // 00000000BEA4: D3B04036 1EE08936
	v_exp_f32_e32 v52, v52                                     // 00000000BEAC: 7E684134
	v_exp_f32_e32 v53, v53                                     // 00000000BEB0: 7E6A4135
	v_exp_f32_e32 v54, v54                                     // 00000000BEB4: 7E6C4136
	v_exp_f32_e32 v55, v55                                     // 00000000BEB8: 7E6E4137
	v_pk_fma_f32 v[56:57], v[56:57], s[68:69], v[184:185]      // 00000000BEBC: D3B04038 1EE08938
	v_pk_fma_f32 v[58:59], v[58:59], s[68:69], v[184:185]      // 00000000BEC4: D3B0403A 1EE0893A
	v_exp_f32_e32 v56, v56                                     // 00000000BECC: 7E704138
	v_exp_f32_e32 v57, v57                                     // 00000000BED0: 7E724139
	v_exp_f32_e32 v58, v58                                     // 00000000BED4: 7E74413A
	v_exp_f32_e32 v59, v59                                     // 00000000BED8: 7E76413B
	v_mul_f32_dpp v60, v130, v28 row_newbcast:0 row_mask:0xf bank_mask:0xf// 00000000BEDC: 0A7838FA FF015082
	v_mul_f32_dpp v61, v130, v29 row_newbcast:1 row_mask:0xf bank_mask:0xf// 00000000BEE4: 0A7A3AFA FF015182
	v_mul_f32_dpp v62, v130, v30 row_newbcast:2 row_mask:0xf bank_mask:0xf// 00000000BEEC: 0A7C3CFA FF015282
	v_mul_f32_dpp v63, v130, v31 row_newbcast:3 row_mask:0xf bank_mask:0xf// 00000000BEF4: 0A7E3EFA FF015382
	v_mul_f32_dpp v64, v130, v32 row_newbcast:4 row_mask:0xf bank_mask:0xf// 00000000BEFC: 0A8040FA FF015482
	v_mul_f32_dpp v65, v130, v33 row_newbcast:5 row_mask:0xf bank_mask:0xf// 00000000BF04: 0A8242FA FF015582
	v_mul_f32_dpp v66, v130, v34 row_newbcast:6 row_mask:0xf bank_mask:0xf// 00000000BF0C: 0A8444FA FF015682
	v_mul_f32_dpp v67, v130, v35 row_newbcast:7 row_mask:0xf bank_mask:0xf// 00000000BF14: 0A8646FA FF015782
	v_mul_f32_dpp v68, v130, v36 row_newbcast:8 row_mask:0xf bank_mask:0xf// 00000000BF1C: 0A8848FA FF015882
	v_mul_f32_dpp v69, v130, v37 row_newbcast:9 row_mask:0xf bank_mask:0xf// 00000000BF24: 0A8A4AFA FF015982
	v_mul_f32_dpp v70, v130, v38 row_newbcast:10 row_mask:0xf bank_mask:0xf// 00000000BF2C: 0A8C4CFA FF015A82
	v_mul_f32_dpp v71, v130, v39 row_newbcast:11 row_mask:0xf bank_mask:0xf// 00000000BF34: 0A8E4EFA FF015B82
	v_mul_f32_dpp v72, v130, v40 row_newbcast:12 row_mask:0xf bank_mask:0xf// 00000000BF3C: 0A9050FA FF015C82
	v_mul_f32_dpp v73, v130, v41 row_newbcast:13 row_mask:0xf bank_mask:0xf// 00000000BF44: 0A9252FA FF015D82
	v_mul_f32_dpp v74, v130, v42 row_newbcast:14 row_mask:0xf bank_mask:0xf// 00000000BF4C: 0A9454FA FF015E82
	v_mul_f32_dpp v75, v130, v43 row_newbcast:15 row_mask:0xf bank_mask:0xf// 00000000BF54: 0A9656FA FF015F82
	v_mul_f32_dpp v76, v130, v44 row_newbcast:0 row_mask:0xf bank_mask:0xf// 00000000BF5C: 0A9858FA FF015082
	v_mul_f32_dpp v77, v130, v45 row_newbcast:1 row_mask:0xf bank_mask:0xf// 00000000BF64: 0A9A5AFA FF015182
	v_mul_f32_dpp v78, v130, v46 row_newbcast:2 row_mask:0xf bank_mask:0xf// 00000000BF6C: 0A9C5CFA FF015282
	v_mul_f32_dpp v79, v130, v47 row_newbcast:3 row_mask:0xf bank_mask:0xf// 00000000BF74: 0A9E5EFA FF015382
	v_mul_f32_dpp v80, v130, v48 row_newbcast:4 row_mask:0xf bank_mask:0xf// 00000000BF7C: 0AA060FA FF015482
	v_mul_f32_dpp v81, v130, v49 row_newbcast:5 row_mask:0xf bank_mask:0xf// 00000000BF84: 0AA262FA FF015582
	v_mul_f32_dpp v82, v130, v50 row_newbcast:6 row_mask:0xf bank_mask:0xf// 00000000BF8C: 0AA464FA FF015682
	v_mul_f32_dpp v83, v130, v51 row_newbcast:7 row_mask:0xf bank_mask:0xf// 00000000BF94: 0AA666FA FF015782
	v_mul_f32_dpp v84, v130, v52 row_newbcast:8 row_mask:0xf bank_mask:0xf// 00000000BF9C: 0AA868FA FF015882
	v_mul_f32_dpp v85, v130, v53 row_newbcast:9 row_mask:0xf bank_mask:0xf// 00000000BFA4: 0AAA6AFA FF015982
	v_mul_f32_dpp v86, v130, v54 row_newbcast:10 row_mask:0xf bank_mask:0xf// 00000000BFAC: 0AAC6CFA FF015A82
	v_mul_f32_dpp v87, v130, v55 row_newbcast:11 row_mask:0xf bank_mask:0xf// 00000000BFB4: 0AAE6EFA FF015B82
	v_mul_f32_dpp v88, v130, v56 row_newbcast:12 row_mask:0xf bank_mask:0xf// 00000000BFBC: 0AB070FA FF015C82
	v_mul_f32_dpp v89, v130, v57 row_newbcast:13 row_mask:0xf bank_mask:0xf// 00000000BFC4: 0AB272FA FF015D82
	v_mul_f32_dpp v90, v130, v58 row_newbcast:14 row_mask:0xf bank_mask:0xf// 00000000BFCC: 0AB474FA FF015E82
	v_mul_f32_dpp v91, v130, v59 row_newbcast:15 row_mask:0xf bank_mask:0xf// 00000000BFD4: 0AB676FA FF015F82
	v_mov_b32_e32 v148, 0x358637bd                             // 00000000BFDC: 7F2802FF 358637BD
	v_max3_f32 v148, |v60|, |v61|, v148                        // 00000000BFE4: D1D30394 06527B3C
	v_max3_f32 v148, |v62|, |v63|, v148                        // 00000000BFEC: D1D30394 06527F3E
	v_max3_f32 v148, |v64|, |v65|, v148                        // 00000000BFF4: D1D30394 06528340
	v_max3_f32 v148, |v66|, |v67|, v148                        // 00000000BFFC: D1D30394 06528742
	v_max3_f32 v148, |v68|, |v69|, v148                        // 00000000C004: D1D30394 06528B44
	v_max3_f32 v148, |v70|, |v71|, v148                        // 00000000C00C: D1D30394 06528F46
	v_max3_f32 v148, |v72|, |v73|, v148                        // 00000000C014: D1D30394 06529348
	v_max3_f32 v148, |v74|, |v75|, v148                        // 00000000C01C: D1D30394 0652974A
	v_mov_b32_e32 v149, 0x358637bd                             // 00000000C024: 7F2A02FF 358637BD
	v_max3_f32 v149, |v76|, |v77|, v149                        // 00000000C02C: D1D30395 06569B4C
	v_max3_f32 v149, |v78|, |v79|, v149                        // 00000000C034: D1D30395 06569F4E
	v_max3_f32 v149, |v80|, |v81|, v149                        // 00000000C03C: D1D30395 0656A350
	v_max3_f32 v149, |v82|, |v83|, v149                        // 00000000C044: D1D30395 0656A752
	v_max3_f32 v149, |v84|, |v85|, v149                        // 00000000C04C: D1D30395 0656AB54
	v_max3_f32 v149, |v86|, |v87|, v149                        // 00000000C054: D1D30395 0656AF56
	v_max3_f32 v149, |v88|, |v89|, v149                        // 00000000C05C: D1D30395 0656B358
	v_max3_f32 v149, |v90|, |v91|, v149                        // 00000000C064: D1D30395 0656B75A
	ds_write_b64 v214, v[148:149] offset:2304                  // 00000000C06C: D89A0900 000094D6
	buffer_load_dword v129, v206, s[28:31], 0 offen            // 00000000C074: E0501000 800781CE
	v_sub_f32_e32 v140, v136, v138                             // 00000000C07C: 05191588
	v_cmp_eq_u32_e64 s[92:93], v195, v136                      // 00000000C080: D0CA005C 000311C3
	s_nop 0                                                    // 00000000C088: BF800000
	v_cndmask_b32_e64 v140, v140, 0, s[92:93]                  // 00000000C08C: D100008C 0171018C
	v_mov_b32_e32 v136, v138                                   // 00000000C094: 7F10038A
	v_mul_f32_e32 v140, s51, v140                              // 00000000C098: 0B191833
	v_exp_f32_e32 v140, v140                                   // 00000000C09C: 7F18418C
	v_sub_f32_e32 v142, v137, v139                             // 00000000C0A0: 051D1789
	v_cmp_eq_u32_e64 s[92:93], v195, v137                      // 00000000C0A4: D0CA005C 000313C3
	s_nop 0                                                    // 00000000C0AC: BF800000
	v_cndmask_b32_e64 v142, v142, 0, s[92:93]                  // 00000000C0B0: D100008E 0171018E
	v_mov_b32_e32 v137, v139                                   // 00000000C0B8: 7F12038B
	v_mul_f32_e32 v142, s51, v142                              // 00000000C0BC: 0B1D1C33
	v_exp_f32_e32 v142, v142                                   // 00000000C0C0: 7F1C418E
	v_mov_b32_e32 v141, v140                                   // 00000000C0C4: 7F1A038C
	v_mov_b32_e32 v143, v142                                   // 00000000C0C8: 7F1E038E
	buffer_load_dword v131, v207, s[32:35], 0 offen            // 00000000C0CC: E0501000 800883CF
	s_waitcnt lgkmcnt(0)                                       // 00000000C0D4: BF8CC07F
	s_barrier                                                  // 00000000C0D8: BF8A0000
	ds_read_b64 v[152:153], v215 offset:2304                   // 00000000C0DC: D8EC0900 980000D7
	ds_read_b64 v[154:155], v215 offset:2432                   // 00000000C0E4: D8EC0980 9A0000D7
	ds_read_b64 v[156:157], v215 offset:2560                   // 00000000C0EC: D8EC0A00 9C0000D7
	ds_read_b64 v[158:159], v215 offset:2688                   // 00000000C0F4: D8EC0A80 9E0000D7
	ds_read_b64 v[160:161], v215 offset:2816                   // 00000000C0FC: D8EC0B00 A00000D7
	ds_read_b64 v[162:163], v215 offset:2944                   // 00000000C104: D8EC0B80 A20000D7
	ds_read_b64 v[164:165], v215 offset:3072                   // 00000000C10C: D8EC0C00 A40000D7
	ds_read_b64 v[166:167], v215 offset:3200                   // 00000000C114: D8EC0C80 A60000D7
	ds_read_b64 v[168:169], v215 offset:3328                   // 00000000C11C: D8EC0D00 A80000D7
	ds_read_b64 v[170:171], v215 offset:3456                   // 00000000C124: D8EC0D80 AA0000D7
	ds_read_b64 v[172:173], v215 offset:3584                   // 00000000C12C: D8EC0E00 AC0000D7
	ds_read_b64 v[174:175], v215 offset:3712                   // 00000000C134: D8EC0E80 AE0000D7
	ds_read_b64 v[176:177], v215 offset:3840                   // 00000000C13C: D8EC0F00 B00000D7
	ds_read_b64 v[178:179], v215 offset:3968                   // 00000000C144: D8EC0F80 B20000D7
	ds_read_b64 v[180:181], v215 offset:4096                   // 00000000C14C: D8EC1000 B40000D7
	ds_read_b64 v[182:183], v215 offset:4224                   // 00000000C154: D8EC1080 B60000D7
	v_mul_f32_e32 v144, v140, v144                             // 00000000C15C: 0B21218C
	v_add_f32_e32 v144, v28, v144                              // 00000000C160: 0321211C
	v_add_f32_e32 v144, v29, v144                              // 00000000C164: 0321211D
	v_add_f32_e32 v144, v30, v144                              // 00000000C168: 0321211E
	v_add_f32_e32 v144, v31, v144                              // 00000000C16C: 0321211F
	v_add_f32_e32 v144, v32, v144                              // 00000000C170: 03212120
	v_add_f32_e32 v144, v33, v144                              // 00000000C174: 03212121
	v_add_f32_e32 v144, v34, v144                              // 00000000C178: 03212122
	v_add_f32_e32 v144, v35, v144                              // 00000000C17C: 03212123
	v_add_f32_e32 v144, v36, v144                              // 00000000C180: 03212124
	v_add_f32_e32 v144, v37, v144                              // 00000000C184: 03212125
	v_add_f32_e32 v144, v38, v144                              // 00000000C188: 03212126
	v_add_f32_e32 v144, v39, v144                              // 00000000C18C: 03212127
	v_add_f32_e32 v144, v40, v144                              // 00000000C190: 03212128
	v_add_f32_e32 v144, v41, v144                              // 00000000C194: 03212129
	v_add_f32_e32 v144, v42, v144                              // 00000000C198: 0321212A
	v_add_f32_e32 v144, v43, v144                              // 00000000C19C: 0321212B
	v_mul_f32_e32 v145, v142, v145                             // 00000000C1A0: 0B23238E
	v_add_f32_e32 v145, v44, v145                              // 00000000C1A4: 0323232C
	v_add_f32_e32 v145, v45, v145                              // 00000000C1A8: 0323232D
	v_add_f32_e32 v145, v46, v145                              // 00000000C1AC: 0323232E
	v_add_f32_e32 v145, v47, v145                              // 00000000C1B0: 0323232F
	v_add_f32_e32 v145, v48, v145                              // 00000000C1B4: 03232330
	v_add_f32_e32 v145, v49, v145                              // 00000000C1B8: 03232331
	v_add_f32_e32 v145, v50, v145                              // 00000000C1BC: 03232332
	v_add_f32_e32 v145, v51, v145                              // 00000000C1C0: 03232333
	v_add_f32_e32 v145, v52, v145                              // 00000000C1C4: 03232334
	v_add_f32_e32 v145, v53, v145                              // 00000000C1C8: 03232335
	v_add_f32_e32 v145, v54, v145                              // 00000000C1CC: 03232336
	v_add_f32_e32 v145, v55, v145                              // 00000000C1D0: 03232337
	v_add_f32_e32 v145, v56, v145                              // 00000000C1D4: 03232338
	v_add_f32_e32 v145, v57, v145                              // 00000000C1D8: 03232339
	v_add_f32_e32 v145, v58, v145                              // 00000000C1DC: 0323233A
	v_add_f32_e32 v145, v59, v145                              // 00000000C1E0: 0323233B
	s_waitcnt lgkmcnt(0)                                       // 00000000C1E4: BF8CC07F
	v_max3_f32 v148, v152, v154, v148                          // 00000000C1E8: D1D30094 06533598
	v_max3_f32 v149, v153, v155, v149                          // 00000000C1F0: D1D30095 06573799
	v_max3_f32 v148, v156, v158, v148                          // 00000000C1F8: D1D30094 06533D9C
	v_max3_f32 v149, v157, v159, v149                          // 00000000C200: D1D30095 06573F9D
	v_max3_f32 v148, v160, v162, v148                          // 00000000C208: D1D30094 065345A0
	v_max3_f32 v149, v161, v163, v149                          // 00000000C210: D1D30095 065747A1
	v_max3_f32 v148, v164, v166, v148                          // 00000000C218: D1D30094 06534DA4
	v_max3_f32 v149, v165, v167, v149                          // 00000000C220: D1D30095 06574FA5
	v_max3_f32 v148, v168, v170, v148                          // 00000000C228: D1D30094 065355A8
	v_max3_f32 v149, v169, v171, v149                          // 00000000C230: D1D30095 065757A9
	v_max3_f32 v148, v172, v174, v148                          // 00000000C238: D1D30094 06535DAC
	v_max3_f32 v149, v173, v175, v149                          // 00000000C240: D1D30095 06575FAD
	v_max3_f32 v148, v176, v178, v148                          // 00000000C248: D1D30094 065365B0
	v_max3_f32 v149, v177, v179, v149                          // 00000000C250: D1D30095 065767B1
	v_max3_f32 v148, v180, v182, v148                          // 00000000C258: D1D30094 06536DB4
	v_max3_f32 v149, v181, v183, v149                          // 00000000C260: D1D30095 06576FB5
	v_rcp_f32_e32 v148, v148                                   // 00000000C268: 7F284594
	v_rcp_f32_e32 v149, v149                                   // 00000000C26C: 7F2A4595
	v_mul_f32_e32 v148, 0x43700000, v148                       // 00000000C270: 0B2928FF 43700000
	v_mul_f32_e32 v149, 0x43700000, v149                       // 00000000C278: 0B2B2AFF 43700000
	v_mov_b32_e32 v150, v149                                   // 00000000C280: 7F2C0395
	v_mov_b32_e32 v151, v149                                   // 00000000C284: 7F2E0395
	v_mov_b32_e32 v149, v148                                   // 00000000C288: 7F2A0394
	v_pk_mul_f32 v[28:29], v[148:149], v[60:61]                // 00000000C28C: D3B1401C 18027994
	v_pk_mul_f32 v[30:31], v[148:149], v[62:63]                // 00000000C294: D3B1401E 18027D94
	v_pk_mul_f32 v[32:33], v[148:149], v[64:65]                // 00000000C29C: D3B14020 18028194
	v_pk_mul_f32 v[34:35], v[148:149], v[66:67]                // 00000000C2A4: D3B14022 18028594
	v_pk_mul_f32 v[36:37], v[148:149], v[68:69]                // 00000000C2AC: D3B14024 18028994
	v_pk_mul_f32 v[38:39], v[148:149], v[70:71]                // 00000000C2B4: D3B14026 18028D94
	v_pk_mul_f32 v[40:41], v[148:149], v[72:73]                // 00000000C2BC: D3B14028 18029194
	v_pk_mul_f32 v[42:43], v[148:149], v[74:75]                // 00000000C2C4: D3B1402A 18029594
	v_pk_mul_f32 v[44:45], v[150:151], v[76:77]                // 00000000C2CC: D3B1402C 18029996
	v_pk_mul_f32 v[46:47], v[150:151], v[78:79]                // 00000000C2D4: D3B1402E 18029D96
	v_pk_mul_f32 v[48:49], v[150:151], v[80:81]                // 00000000C2DC: D3B14030 1802A196
	v_pk_mul_f32 v[50:51], v[150:151], v[82:83]                // 00000000C2E4: D3B14032 1802A596
	v_pk_mul_f32 v[52:53], v[150:151], v[84:85]                // 00000000C2EC: D3B14034 1802A996
	v_pk_mul_f32 v[54:55], v[150:151], v[86:87]                // 00000000C2F4: D3B14036 1802AD96
	v_pk_mul_f32 v[56:57], v[150:151], v[88:89]                // 00000000C2FC: D3B14038 1802B196
	v_pk_mul_f32 v[58:59], v[150:151], v[90:91]                // 00000000C304: D3B1403A 1802B596
	v_cvt_pk_fp8_f32 v28, v28, v29                             // 00000000C30C: D2A2001C 00023B1C
	v_cvt_pk_fp8_f32 v28, v30, v31 op_sel:[0,0,1]              // 00000000C314: D2A2401C 00023F1E
	v_cvt_pk_fp8_f32 v29, v32, v33                             // 00000000C31C: D2A2001D 00024320
	v_cvt_pk_fp8_f32 v29, v34, v35 op_sel:[0,0,1]              // 00000000C324: D2A2401D 00024722
	v_cvt_pk_fp8_f32 v30, v36, v37                             // 00000000C32C: D2A2001E 00024B24
	v_cvt_pk_fp8_f32 v30, v38, v39 op_sel:[0,0,1]              // 00000000C334: D2A2401E 00024F26
	v_cvt_pk_fp8_f32 v31, v40, v41                             // 00000000C33C: D2A2001F 00025328
	v_cvt_pk_fp8_f32 v31, v42, v43 op_sel:[0,0,1]              // 00000000C344: D2A2401F 0002572A
	v_cvt_pk_fp8_f32 v32, v44, v45                             // 00000000C34C: D2A20020 00025B2C
	v_cvt_pk_fp8_f32 v32, v46, v47 op_sel:[0,0,1]              // 00000000C354: D2A24020 00025F2E
	v_cvt_pk_fp8_f32 v33, v48, v49                             // 00000000C35C: D2A20021 00026330
	v_cvt_pk_fp8_f32 v33, v50, v51 op_sel:[0,0,1]              // 00000000C364: D2A24021 00026732
	v_cvt_pk_fp8_f32 v34, v52, v53                             // 00000000C36C: D2A20022 00026B34
	v_cvt_pk_fp8_f32 v34, v54, v55 op_sel:[0,0,1]              // 00000000C374: D2A24022 00026F36
	v_cvt_pk_fp8_f32 v35, v56, v57                             // 00000000C37C: D2A20023 00027338
	v_cvt_pk_fp8_f32 v35, v58, v59 op_sel:[0,0,1]              // 00000000C384: D2A24023 0002773A
	ds_write_b32 v216, v28 offset:4608                         // 00000000C38C: D81A1200 00001CD8
	ds_write_b32 v216, v29 offset:5632                         // 00000000C394: D81A1600 00001DD8
	ds_write_b32 v216, v30 offset:6656                         // 00000000C39C: D81A1A00 00001ED8
	ds_write_b32 v216, v31 offset:7680                         // 00000000C3A4: D81A1E00 00001FD8
	ds_write_b32 v216, v32 offset:8704                         // 00000000C3AC: D81A2200 000020D8
	ds_write_b32 v216, v33 offset:9728                         // 00000000C3B4: D81A2600 000021D8
	ds_write_b32 v216, v34 offset:10752                        // 00000000C3BC: D81A2A00 000022D8
	ds_write_b32 v216, v35 offset:11776                        // 00000000C3C4: D81A2E00 000023D8
	v_rcp_f32_e32 v132, v148                                   // 00000000C3CC: 7F084594
	v_rcp_f32_e32 v134, v150                                   // 00000000C3D0: 7F0C4596
	v_mov_b32_e32 v133, v132                                   // 00000000C3D4: 7F0A0384
	v_mov_b32_e32 v135, v134                                   // 00000000C3D8: 7F0E0386
	v_pk_add_f32 v[108:109], v[108:109], v[92:93]              // 00000000C3DC: D3B2406C 1802B96C
	v_pk_add_f32 v[110:111], v[110:111], v[94:95]              // 00000000C3E4: D3B2406E 1802BD6E
	v_pk_add_f32 v[112:113], v[112:113], v[96:97]              // 00000000C3EC: D3B24070 1802C170
	v_pk_add_f32 v[114:115], v[114:115], v[98:99]              // 00000000C3F4: D3B24072 1802C572
	v_pk_add_f32 v[116:117], v[116:117], v[100:101]            // 00000000C3FC: D3B24074 1802C974
	v_pk_add_f32 v[118:119], v[118:119], v[102:103]            // 00000000C404: D3B24076 1802CD76
	v_pk_add_f32 v[120:121], v[120:121], v[104:105]            // 00000000C40C: D3B24078 1802D178
	v_pk_add_f32 v[122:123], v[122:123], v[106:107]            // 00000000C414: D3B2407A 1802D57A
	s_waitcnt lgkmcnt(0)                                       // 00000000C41C: BF8CC07F
	s_barrier                                                  // 00000000C420: BF8A0000
	ds_read_b128 v[28:31], v217 offset:4608                    // 00000000C424: D9FE1200 1C0000D9
	ds_read_b128 v[32:35], v217 offset:5632                    // 00000000C42C: D9FE1600 200000D9
	ds_read_b128 v[36:39], v217 offset:6656                    // 00000000C434: D9FE1A00 240000D9
	ds_read_b128 v[40:43], v217 offset:7680                    // 00000000C43C: D9FE1E00 280000D9
	ds_read_b128 v[44:47], v217 offset:8704                    // 00000000C444: D9FE2200 2C0000D9
	ds_read_b128 v[48:51], v217 offset:9728                    // 00000000C44C: D9FE2600 300000D9
	ds_read_b128 v[52:55], v217 offset:10752                   // 00000000C454: D9FE2A00 340000D9
	ds_read_b128 v[56:59], v217 offset:11776                   // 00000000C45C: D9FE2E00 380000D9
	s_waitcnt vmcnt(10)                                        // 00000000C464: BF8C0F7A
	s_waitcnt lgkmcnt(7)                                       // 00000000C468: BF8CC77F
	v_mfma_f32_16x16x32_fp8_fp8 v[92:95], a[64:65], v[28:29], 0// 00000000C46C: D3F3005C 0A023940
	v_mfma_f32_16x16x32_fp8_fp8 v[96:99], a[80:81], v[28:29], 0// 00000000C474: D3F30060 0A023950
	v_mfma_f32_16x16x32_fp8_fp8 v[92:95], a[66:67], v[30:31], v[92:95]// 00000000C47C: D3F3005C 0D723D42
	buffer_load_dwordx4 a[96:99], v202, s[16:19], 0 offen      // 00000000C484: E05C1000 808460CA
	v_mfma_f32_16x16x32_fp8_fp8 v[96:99], a[82:83], v[30:31], v[96:99]// 00000000C48C: D3F30060 0D823D52
	s_waitcnt lgkmcnt(6)                                       // 00000000C494: BF8CC67F
	v_mfma_f32_16x16x32_fp8_fp8 v[92:95], a[68:69], v[32:33], v[92:95]// 00000000C498: D3F3005C 0D724144
	v_mfma_f32_16x16x32_fp8_fp8 v[96:99], a[84:85], v[32:33], v[96:99]// 00000000C4A0: D3F30060 0D824154
	v_mfma_f32_16x16x32_fp8_fp8 v[92:95], a[70:71], v[34:35], v[92:95]// 00000000C4A8: D3F3005C 0D724546
	buffer_load_dwordx4 a[100:103], v203, s[16:19], 0 offen    // 00000000C4B0: E05C1000 808464CB
	v_mfma_f32_16x16x32_fp8_fp8 v[96:99], a[86:87], v[34:35], v[96:99]// 00000000C4B8: D3F30060 0D824556
	s_waitcnt lgkmcnt(5)                                       // 00000000C4C0: BF8CC57F
	v_mfma_f32_16x16x32_fp8_fp8 v[92:95], a[72:73], v[36:37], v[92:95]// 00000000C4C4: D3F3005C 0D724948
	v_mfma_f32_16x16x32_fp8_fp8 v[96:99], a[88:89], v[36:37], v[96:99]// 00000000C4CC: D3F30060 0D824958
	v_mfma_f32_16x16x32_fp8_fp8 v[92:95], a[74:75], v[38:39], v[92:95]// 00000000C4D4: D3F3005C 0D724D4A
	buffer_load_dwordx4 a[104:107], v204, s[16:19], 0 offen    // 00000000C4DC: E05C1000 808468CC
	v_mfma_f32_16x16x32_fp8_fp8 v[96:99], a[90:91], v[38:39], v[96:99]// 00000000C4E4: D3F30060 0D824D5A
	s_waitcnt lgkmcnt(4)                                       // 00000000C4EC: BF8CC47F
	v_mfma_f32_16x16x32_fp8_fp8 v[92:95], a[76:77], v[40:41], v[92:95]// 00000000C4F0: D3F3005C 0D72514C
	v_mfma_f32_16x16x32_fp8_fp8 v[96:99], a[92:93], v[40:41], v[96:99]// 00000000C4F8: D3F30060 0D82515C
	v_mfma_f32_16x16x32_fp8_fp8 v[92:95], a[78:79], v[42:43], v[92:95]// 00000000C500: D3F3005C 0D72554E
	buffer_load_dwordx4 a[108:111], v205, s[16:19], 0 offen    // 00000000C508: E05C1000 80846CCD
	v_mfma_f32_16x16x32_fp8_fp8 v[96:99], a[94:95], v[42:43], v[96:99]// 00000000C510: D3F30060 0D82555E
	s_waitcnt lgkmcnt(3)                                       // 00000000C518: BF8CC37F
	v_mfma_f32_16x16x32_fp8_fp8 v[100:103], a[64:65], v[44:45], 0// 00000000C51C: D3F30064 0A025940
	v_mfma_f32_16x16x32_fp8_fp8 v[104:107], a[80:81], v[44:45], 0// 00000000C524: D3F30068 0A025950
	v_mfma_f32_16x16x32_fp8_fp8 v[100:103], a[66:67], v[46:47], v[100:103]// 00000000C52C: D3F30064 0D925D42
	buffer_load_dwordx4 a[112:115], v202, s[16:19], 0 offen offset:1024// 00000000C534: E05C1400 808470CA
	v_mfma_f32_16x16x32_fp8_fp8 v[104:107], a[82:83], v[46:47], v[104:107]// 00000000C53C: D3F30068 0DA25D52
	s_waitcnt lgkmcnt(2)                                       // 00000000C544: BF8CC27F
	v_mfma_f32_16x16x32_fp8_fp8 v[100:103], a[68:69], v[48:49], v[100:103]// 00000000C548: D3F30064 0D926144
	v_mfma_f32_16x16x32_fp8_fp8 v[104:107], a[84:85], v[48:49], v[104:107]// 00000000C550: D3F30068 0DA26154
	v_mfma_f32_16x16x32_fp8_fp8 v[100:103], a[70:71], v[50:51], v[100:103]// 00000000C558: D3F30064 0D926546
	buffer_load_dwordx4 a[116:119], v203, s[16:19], 0 offen offset:1024// 00000000C560: E05C1400 808474CB
	v_mfma_f32_16x16x32_fp8_fp8 v[104:107], a[86:87], v[50:51], v[104:107]// 00000000C568: D3F30068 0DA26556
	s_waitcnt lgkmcnt(1)                                       // 00000000C570: BF8CC17F
	v_mfma_f32_16x16x32_fp8_fp8 v[100:103], a[72:73], v[52:53], v[100:103]// 00000000C574: D3F30064 0D926948
	v_mfma_f32_16x16x32_fp8_fp8 v[104:107], a[88:89], v[52:53], v[104:107]// 00000000C57C: D3F30068 0DA26958
	v_mfma_f32_16x16x32_fp8_fp8 v[100:103], a[74:75], v[54:55], v[100:103]// 00000000C584: D3F30064 0D926D4A
	buffer_load_dwordx4 a[120:123], v204, s[16:19], 0 offen offset:1024// 00000000C58C: E05C1400 808478CC
	v_mfma_f32_16x16x32_fp8_fp8 v[104:107], a[90:91], v[54:55], v[104:107]// 00000000C594: D3F30068 0DA26D5A
	s_waitcnt lgkmcnt(0)                                       // 00000000C59C: BF8CC07F
	v_mfma_f32_16x16x32_fp8_fp8 v[100:103], a[76:77], v[56:57], v[100:103]// 00000000C5A0: D3F30064 0D92714C
	v_mfma_f32_16x16x32_fp8_fp8 v[104:107], a[92:93], v[56:57], v[104:107]// 00000000C5A8: D3F30068 0DA2715C
	v_mfma_f32_16x16x32_fp8_fp8 v[100:103], a[78:79], v[58:59], v[100:103]// 00000000C5B0: D3F30064 0D92754E
	buffer_load_dwordx4 a[124:127], v205, s[16:19], 0 offen offset:1024// 00000000C5B8: E05C1400 80847CCD
	v_mfma_f32_16x16x32_fp8_fp8 v[104:107], a[94:95], v[58:59], v[104:107]// 00000000C5C0: D3F30068 0DA2755E
	s_addk_i32 s49, 0x100                                      // 00000000C5C8: B7310100
	s_branch label_3149                                        // 00000000C5CC: BF820815

000000000000c5d0 <label_2934>:
	s_cmp_lt_i32 s49, s60                                      // 00000000C5D0: BF043C31
	s_cbranch_scc0 label_3149                                  // 00000000C5D4: BF840813
	s_waitcnt vmcnt(10)                                        // 00000000C5D8: BF8C0F7A
	v_mfma_f32_16x16x32_fp8_fp8 v[28:31], a[32:33], v[12:13], 0// 00000000C5DC: D3F3001C 0A021920
	s_add_u32 s12, s84, s64                                    // 00000000C5E4: 800C4054
	s_addc_u32 s13, s85, 0                                     // 00000000C5E8: 820D8055
	v_mfma_f32_16x16x32_fp8_fp8 v[28:31], a[34:35], v[14:15], v[28:31]// 00000000C5EC: D3F3001C 0C721D22
	s_add_u32 s16, s86, s65                                    // 00000000C5F4: 80104156
	s_addc_u32 s17, s87, 0                                     // 00000000C5F8: 82118057
	v_mfma_f32_16x16x32_fp8_fp8 v[28:31], a[36:37], v[16:17], v[28:31]// 00000000C5FC: D3F3001C 0C722124
	buffer_load_dwordx4 a[0:3], v200, s[12:15], 0 offen        // 00000000C604: E05C1000 808300C8
	v_mfma_f32_16x16x32_fp8_fp8 v[28:31], a[38:39], v[18:19], v[28:31]// 00000000C60C: D3F3001C 0C722526
	s_add_u32 s28, s88, s66                                    // 00000000C614: 801C4258
	s_addc_u32 s29, s89, 0                                     // 00000000C618: 821D8059
	v_mfma_f32_16x16x32_fp8_fp8 v[32:35], a[40:41], v[12:13], 0// 00000000C61C: D3F30020 0A021928
	s_add_u32 s32, s90, s66                                    // 00000000C624: 8020425A
	s_addc_u32 s33, s91, 0                                     // 00000000C628: 8221805B
	v_mfma_f32_16x16x32_fp8_fp8 v[32:35], a[42:43], v[14:15], v[32:35]// 00000000C62C: D3F30020 0C821D2A
	s_add_u32 s64, s64, 0x1000                                 // 00000000C634: 8040FF40 00001000
	s_add_u32 s65, s65, 0x8000                                 // 00000000C63C: 8041FF41 00008000
	v_mfma_f32_16x16x32_fp8_fp8 v[32:35], a[44:45], v[16:17], v[32:35]// 00000000C644: D3F30020 0C82212C
	buffer_load_dwordx4 a[4:7], v201, s[12:15], 0 offen        // 00000000C64C: E05C1000 808304C9
	v_mfma_f32_16x16x32_fp8_fp8 v[32:35], a[46:47], v[18:19], v[32:35]// 00000000C654: D3F30020 0C82252E
	s_add_u32 s66, s66, 0x400                                  // 00000000C65C: 8042FF42 00000400
	v_mfma_f32_16x16x32_fp8_fp8 v[36:39], a[48:49], v[12:13], 0// 00000000C664: D3F30024 0A021930
	v_mfma_f32_16x16x32_fp8_fp8 v[36:39], a[50:51], v[14:15], v[36:39]// 00000000C66C: D3F30024 0C921D32
	v_mfma_f32_16x16x32_fp8_fp8 v[36:39], a[52:53], v[16:17], v[36:39]// 00000000C674: D3F30024 0C922134
	buffer_load_dwordx4 a[8:11], v200, s[12:15], 0 offen offset:1024// 00000000C67C: E05C1400 808308C8
	v_mfma_f32_16x16x32_fp8_fp8 v[36:39], a[54:55], v[18:19], v[36:39]// 00000000C684: D3F30024 0C922536
	v_mfma_f32_16x16x32_fp8_fp8 v[40:43], a[56:57], v[12:13], 0// 00000000C68C: D3F30028 0A021938
	v_mfma_f32_16x16x32_fp8_fp8 v[40:43], a[58:59], v[14:15], v[40:43]// 00000000C694: D3F30028 0CA21D3A
	v_mfma_f32_16x16x32_fp8_fp8 v[40:43], a[60:61], v[16:17], v[40:43]// 00000000C69C: D3F30028 0CA2213C
	buffer_load_dwordx4 a[12:15], v201, s[12:15], 0 offen offset:1024// 00000000C6A4: E05C1400 80830CC9
	v_mfma_f32_16x16x32_fp8_fp8 v[40:43], a[62:63], v[18:19], v[40:43]// 00000000C6AC: D3F30028 0CA2253E
	v_mfma_f32_16x16x32_fp8_fp8 v[44:47], a[32:33], v[20:21], 0// 00000000C6B4: D3F3002C 0A022920
	v_mfma_f32_16x16x32_fp8_fp8 v[44:47], a[34:35], v[22:23], v[44:47]// 00000000C6BC: D3F3002C 0CB22D22
	v_mfma_f32_16x16x32_fp8_fp8 v[44:47], a[36:37], v[24:25], v[44:47]// 00000000C6C4: D3F3002C 0CB23124
	buffer_load_dwordx4 a[16:19], v200, s[12:15], 0 offen offset:2048// 00000000C6CC: E05C1800 808310C8
	v_mfma_f32_16x16x32_fp8_fp8 v[44:47], a[38:39], v[26:27], v[44:47]// 00000000C6D4: D3F3002C 0CB23526
	v_mfma_f32_16x16x32_fp8_fp8 v[48:51], a[40:41], v[20:21], 0// 00000000C6DC: D3F30030 0A022928
	v_mfma_f32_16x16x32_fp8_fp8 v[48:51], a[42:43], v[22:23], v[48:51]// 00000000C6E4: D3F30030 0CC22D2A
	v_mfma_f32_16x16x32_fp8_fp8 v[48:51], a[44:45], v[24:25], v[48:51]// 00000000C6EC: D3F30030 0CC2312C
	buffer_load_dwordx4 a[20:23], v201, s[12:15], 0 offen offset:2048// 00000000C6F4: E05C1800 808314C9
	v_mfma_f32_16x16x32_fp8_fp8 v[48:51], a[46:47], v[26:27], v[48:51]// 00000000C6FC: D3F30030 0CC2352E
	v_mfma_f32_16x16x32_fp8_fp8 v[52:55], a[48:49], v[20:21], 0// 00000000C704: D3F30034 0A022930
	v_mfma_f32_16x16x32_fp8_fp8 v[52:55], a[50:51], v[22:23], v[52:55]// 00000000C70C: D3F30034 0CD22D32
	v_mfma_f32_16x16x32_fp8_fp8 v[52:55], a[52:53], v[24:25], v[52:55]// 00000000C714: D3F30034 0CD23134
	buffer_load_dwordx4 a[24:27], v200, s[12:15], 0 offen offset:3072// 00000000C71C: E05C1C00 808318C8
	v_mfma_f32_16x16x32_fp8_fp8 v[52:55], a[54:55], v[26:27], v[52:55]// 00000000C724: D3F30034 0CD23536
	v_mfma_f32_16x16x32_fp8_fp8 v[56:59], a[56:57], v[20:21], 0// 00000000C72C: D3F30038 0A022938
	v_mfma_f32_16x16x32_fp8_fp8 v[56:59], a[58:59], v[22:23], v[56:59]// 00000000C734: D3F30038 0CE22D3A
	v_mfma_f32_16x16x32_fp8_fp8 v[56:59], a[60:61], v[24:25], v[56:59]// 00000000C73C: D3F30038 0CE2313C
	buffer_load_dwordx4 a[28:31], v201, s[12:15], 0 offen offset:3072// 00000000C744: E05C1C00 80831CC9
	v_mfma_f32_16x16x32_fp8_fp8 v[56:59], a[62:63], v[26:27], v[56:59]// 00000000C74C: D3F30038 0CE2353E
	s_waitcnt vmcnt(16)                                        // 00000000C754: BF8C4F70
	v_pk_mul_f32 v[28:29], v[124:125], v[28:29]                // 00000000C758: D3B1401C 1802397C
	v_pk_mul_f32 v[30:31], v[124:125], v[30:31]                // 00000000C760: D3B1401E 18023D7C
	v_mul_f32_dpp v28, v129, v28 row_newbcast:0 row_mask:0xf bank_mask:0xf// 00000000C768: 0A3838FA FF015081
	v_mul_f32_dpp v29, v129, v29 row_newbcast:1 row_mask:0xf bank_mask:0xf// 00000000C770: 0A3A3AFA FF015181
	v_mul_f32_dpp v30, v129, v30 row_newbcast:2 row_mask:0xf bank_mask:0xf// 00000000C778: 0A3C3CFA FF015281
	v_mul_f32_dpp v31, v129, v31 row_newbcast:3 row_mask:0xf bank_mask:0xf// 00000000C780: 0A3E3EFA FF015381
	v_pk_mul_f32 v[32:33], v[124:125], v[32:33]                // 00000000C788: D3B14020 1802417C
	v_pk_mul_f32 v[34:35], v[124:125], v[34:35]                // 00000000C790: D3B14022 1802457C
	v_mul_f32_dpp v32, v129, v32 row_newbcast:4 row_mask:0xf bank_mask:0xf// 00000000C798: 0A4040FA FF015481
	v_mul_f32_dpp v33, v129, v33 row_newbcast:5 row_mask:0xf bank_mask:0xf// 00000000C7A0: 0A4242FA FF015581
	v_mul_f32_dpp v34, v129, v34 row_newbcast:6 row_mask:0xf bank_mask:0xf// 00000000C7A8: 0A4444FA FF015681
	v_mul_f32_dpp v35, v129, v35 row_newbcast:7 row_mask:0xf bank_mask:0xf// 00000000C7B0: 0A4646FA FF015781
	v_pk_mul_f32 v[36:37], v[124:125], v[36:37]                // 00000000C7B8: D3B14024 1802497C
	v_pk_mul_f32 v[38:39], v[124:125], v[38:39]                // 00000000C7C0: D3B14026 18024D7C
	v_mul_f32_dpp v36, v129, v36 row_newbcast:8 row_mask:0xf bank_mask:0xf// 00000000C7C8: 0A4848FA FF015881
	v_mul_f32_dpp v37, v129, v37 row_newbcast:9 row_mask:0xf bank_mask:0xf// 00000000C7D0: 0A4A4AFA FF015981
	v_mul_f32_dpp v38, v129, v38 row_newbcast:10 row_mask:0xf bank_mask:0xf// 00000000C7D8: 0A4C4CFA FF015A81
	v_mul_f32_dpp v39, v129, v39 row_newbcast:11 row_mask:0xf bank_mask:0xf// 00000000C7E0: 0A4E4EFA FF015B81
	v_pk_mul_f32 v[40:41], v[124:125], v[40:41]                // 00000000C7E8: D3B14028 1802517C
	v_pk_mul_f32 v[42:43], v[124:125], v[42:43]                // 00000000C7F0: D3B1402A 1802557C
	v_mul_f32_dpp v40, v129, v40 row_newbcast:12 row_mask:0xf bank_mask:0xf// 00000000C7F8: 0A5050FA FF015C81
	v_mul_f32_dpp v41, v129, v41 row_newbcast:13 row_mask:0xf bank_mask:0xf// 00000000C800: 0A5252FA FF015D81
	v_mul_f32_dpp v42, v129, v42 row_newbcast:14 row_mask:0xf bank_mask:0xf// 00000000C808: 0A5454FA FF015E81
	v_mul_f32_dpp v43, v129, v43 row_newbcast:15 row_mask:0xf bank_mask:0xf// 00000000C810: 0A5656FA FF015F81
	v_pk_mul_f32 v[44:45], v[126:127], v[44:45]                // 00000000C818: D3B1402C 1802597E
	v_pk_mul_f32 v[46:47], v[126:127], v[46:47]                // 00000000C820: D3B1402E 18025D7E
	v_mul_f32_dpp v44, v129, v44 row_newbcast:0 row_mask:0xf bank_mask:0xf// 00000000C828: 0A5858FA FF015081
	v_mul_f32_dpp v45, v129, v45 row_newbcast:1 row_mask:0xf bank_mask:0xf// 00000000C830: 0A5A5AFA FF015181
	v_mul_f32_dpp v46, v129, v46 row_newbcast:2 row_mask:0xf bank_mask:0xf// 00000000C838: 0A5C5CFA FF015281
	v_mul_f32_dpp v47, v129, v47 row_newbcast:3 row_mask:0xf bank_mask:0xf// 00000000C840: 0A5E5EFA FF015381
	v_pk_mul_f32 v[48:49], v[126:127], v[48:49]                // 00000000C848: D3B14030 1802617E
	v_pk_mul_f32 v[50:51], v[126:127], v[50:51]                // 00000000C850: D3B14032 1802657E
	v_mul_f32_dpp v48, v129, v48 row_newbcast:4 row_mask:0xf bank_mask:0xf// 00000000C858: 0A6060FA FF015481
	v_mul_f32_dpp v49, v129, v49 row_newbcast:5 row_mask:0xf bank_mask:0xf// 00000000C860: 0A6262FA FF015581
	v_mul_f32_dpp v50, v129, v50 row_newbcast:6 row_mask:0xf bank_mask:0xf// 00000000C868: 0A6464FA FF015681
	v_mul_f32_dpp v51, v129, v51 row_newbcast:7 row_mask:0xf bank_mask:0xf// 00000000C870: 0A6666FA FF015781
	v_pk_mul_f32 v[52:53], v[126:127], v[52:53]                // 00000000C878: D3B14034 1802697E
	v_pk_mul_f32 v[54:55], v[126:127], v[54:55]                // 00000000C880: D3B14036 18026D7E
	v_mul_f32_dpp v52, v129, v52 row_newbcast:8 row_mask:0xf bank_mask:0xf// 00000000C888: 0A6868FA FF015881
	v_mul_f32_dpp v53, v129, v53 row_newbcast:9 row_mask:0xf bank_mask:0xf// 00000000C890: 0A6A6AFA FF015981
	v_mul_f32_dpp v54, v129, v54 row_newbcast:10 row_mask:0xf bank_mask:0xf// 00000000C898: 0A6C6CFA FF015A81
	v_mul_f32_dpp v55, v129, v55 row_newbcast:11 row_mask:0xf bank_mask:0xf// 00000000C8A0: 0A6E6EFA FF015B81
	v_pk_mul_f32 v[56:57], v[126:127], v[56:57]                // 00000000C8A8: D3B14038 1802717E
	v_pk_mul_f32 v[58:59], v[126:127], v[58:59]                // 00000000C8B0: D3B1403A 1802757E
	v_mul_f32_dpp v56, v129, v56 row_newbcast:12 row_mask:0xf bank_mask:0xf// 00000000C8B8: 0A7070FA FF015C81
	v_mul_f32_dpp v57, v129, v57 row_newbcast:13 row_mask:0xf bank_mask:0xf// 00000000C8C0: 0A7272FA FF015D81
	v_mul_f32_dpp v58, v129, v58 row_newbcast:14 row_mask:0xf bank_mask:0xf// 00000000C8C8: 0A7474FA FF015E81
	v_mul_f32_dpp v59, v129, v59 row_newbcast:15 row_mask:0xf bank_mask:0xf// 00000000C8D0: 0A7676FA FF015F81
	v_add_u32_e32 v184, s49, v194                              // 00000000C8D8: 69718431
	v_add_u32_e32 v185, 0, v184                                // 00000000C8DC: 69737080
	v_cmp_lt_u32_e64 s[92:93], v185, v192                      // 00000000C8E0: D0C9005C 000381B9
	s_nop 0                                                    // 00000000C8E8: BF800000
	v_cndmask_b32_e64 v28, v195, v28, s[92:93]                 // 00000000C8EC: D100001C 017239C3
	v_add_u32_e32 v185, 1, v184                                // 00000000C8F4: 69737081
	v_cmp_lt_u32_e64 s[92:93], v185, v192                      // 00000000C8F8: D0C9005C 000381B9
	s_nop 0                                                    // 00000000C900: BF800000
	v_cndmask_b32_e64 v29, v195, v29, s[92:93]                 // 00000000C904: D100001D 01723BC3
	v_add_u32_e32 v185, 2, v184                                // 00000000C90C: 69737082
	v_cmp_lt_u32_e64 s[92:93], v185, v192                      // 00000000C910: D0C9005C 000381B9
	s_nop 0                                                    // 00000000C918: BF800000
	v_cndmask_b32_e64 v30, v195, v30, s[92:93]                 // 00000000C91C: D100001E 01723DC3
	v_add_u32_e32 v185, 3, v184                                // 00000000C924: 69737083
	v_cmp_lt_u32_e64 s[92:93], v185, v192                      // 00000000C928: D0C9005C 000381B9
	s_nop 0                                                    // 00000000C930: BF800000
	v_cndmask_b32_e64 v31, v195, v31, s[92:93]                 // 00000000C934: D100001F 01723FC3
	v_add_u32_e32 v185, 64, v184                               // 00000000C93C: 697370C0
	v_cmp_lt_u32_e64 s[92:93], v185, v192                      // 00000000C940: D0C9005C 000381B9
	s_nop 0                                                    // 00000000C948: BF800000
	v_cndmask_b32_e64 v32, v195, v32, s[92:93]                 // 00000000C94C: D1000020 017241C3
	v_add_u32_e32 v185, 0x41, v184                             // 00000000C954: 697370FF 00000041
	v_cmp_lt_u32_e64 s[92:93], v185, v192                      // 00000000C95C: D0C9005C 000381B9
	s_nop 0                                                    // 00000000C964: BF800000
	v_cndmask_b32_e64 v33, v195, v33, s[92:93]                 // 00000000C968: D1000021 017243C3
	v_add_u32_e32 v185, 0x42, v184                             // 00000000C970: 697370FF 00000042
	v_cmp_lt_u32_e64 s[92:93], v185, v192                      // 00000000C978: D0C9005C 000381B9
	s_nop 0                                                    // 00000000C980: BF800000
	v_cndmask_b32_e64 v34, v195, v34, s[92:93]                 // 00000000C984: D1000022 017245C3
	v_add_u32_e32 v185, 0x43, v184                             // 00000000C98C: 697370FF 00000043
	v_cmp_lt_u32_e64 s[92:93], v185, v192                      // 00000000C994: D0C9005C 000381B9
	s_nop 0                                                    // 00000000C99C: BF800000
	v_cndmask_b32_e64 v35, v195, v35, s[92:93]                 // 00000000C9A0: D1000023 017247C3
	v_add_u32_e32 v185, 0x80, v184                             // 00000000C9A8: 697370FF 00000080
	v_cmp_lt_u32_e64 s[92:93], v185, v192                      // 00000000C9B0: D0C9005C 000381B9
	s_nop 0                                                    // 00000000C9B8: BF800000
	v_cndmask_b32_e64 v36, v195, v36, s[92:93]                 // 00000000C9BC: D1000024 017249C3
	v_add_u32_e32 v185, 0x81, v184                             // 00000000C9C4: 697370FF 00000081
	v_cmp_lt_u32_e64 s[92:93], v185, v192                      // 00000000C9CC: D0C9005C 000381B9
	s_nop 0                                                    // 00000000C9D4: BF800000
	v_cndmask_b32_e64 v37, v195, v37, s[92:93]                 // 00000000C9D8: D1000025 01724BC3
	v_add_u32_e32 v185, 0x82, v184                             // 00000000C9E0: 697370FF 00000082
	v_cmp_lt_u32_e64 s[92:93], v185, v192                      // 00000000C9E8: D0C9005C 000381B9
	s_nop 0                                                    // 00000000C9F0: BF800000
	v_cndmask_b32_e64 v38, v195, v38, s[92:93]                 // 00000000C9F4: D1000026 01724DC3
	v_add_u32_e32 v185, 0x83, v184                             // 00000000C9FC: 697370FF 00000083
	v_cmp_lt_u32_e64 s[92:93], v185, v192                      // 00000000CA04: D0C9005C 000381B9
	s_nop 0                                                    // 00000000CA0C: BF800000
	v_cndmask_b32_e64 v39, v195, v39, s[92:93]                 // 00000000CA10: D1000027 01724FC3
	v_add_u32_e32 v185, 0xc0, v184                             // 00000000CA18: 697370FF 000000C0
	v_cmp_lt_u32_e64 s[92:93], v185, v192                      // 00000000CA20: D0C9005C 000381B9
	s_nop 0                                                    // 00000000CA28: BF800000
	v_cndmask_b32_e64 v40, v195, v40, s[92:93]                 // 00000000CA2C: D1000028 017251C3
	v_add_u32_e32 v185, 0xc1, v184                             // 00000000CA34: 697370FF 000000C1
	v_cmp_lt_u32_e64 s[92:93], v185, v192                      // 00000000CA3C: D0C9005C 000381B9
	s_nop 0                                                    // 00000000CA44: BF800000
	v_cndmask_b32_e64 v41, v195, v41, s[92:93]                 // 00000000CA48: D1000029 017253C3
	v_add_u32_e32 v185, 0xc2, v184                             // 00000000CA50: 697370FF 000000C2
	v_cmp_lt_u32_e64 s[92:93], v185, v192                      // 00000000CA58: D0C9005C 000381B9
	s_nop 0                                                    // 00000000CA60: BF800000
	v_cndmask_b32_e64 v42, v195, v42, s[92:93]                 // 00000000CA64: D100002A 017255C3
	v_add_u32_e32 v185, 0xc3, v184                             // 00000000CA6C: 697370FF 000000C3
	v_cmp_lt_u32_e64 s[92:93], v185, v192                      // 00000000CA74: D0C9005C 000381B9
	s_nop 0                                                    // 00000000CA7C: BF800000
	v_cndmask_b32_e64 v43, v195, v43, s[92:93]                 // 00000000CA80: D100002B 017257C3
	v_add_u32_e32 v185, 0, v184                                // 00000000CA88: 69737080
	v_cmp_lt_u32_e64 s[92:93], v185, v193                      // 00000000CA8C: D0C9005C 000383B9
	s_nop 0                                                    // 00000000CA94: BF800000
	v_cndmask_b32_e64 v44, v195, v44, s[92:93]                 // 00000000CA98: D100002C 017259C3
	v_add_u32_e32 v185, 1, v184                                // 00000000CAA0: 69737081
	v_cmp_lt_u32_e64 s[92:93], v185, v193                      // 00000000CAA4: D0C9005C 000383B9
	s_nop 0                                                    // 00000000CAAC: BF800000
	v_cndmask_b32_e64 v45, v195, v45, s[92:93]                 // 00000000CAB0: D100002D 01725BC3
	v_add_u32_e32 v185, 2, v184                                // 00000000CAB8: 69737082
	v_cmp_lt_u32_e64 s[92:93], v185, v193                      // 00000000CABC: D0C9005C 000383B9
	s_nop 0                                                    // 00000000CAC4: BF800000
	v_cndmask_b32_e64 v46, v195, v46, s[92:93]                 // 00000000CAC8: D100002E 01725DC3
	v_add_u32_e32 v185, 3, v184                                // 00000000CAD0: 69737083
	v_cmp_lt_u32_e64 s[92:93], v185, v193                      // 00000000CAD4: D0C9005C 000383B9
	s_nop 0                                                    // 00000000CADC: BF800000
	v_cndmask_b32_e64 v47, v195, v47, s[92:93]                 // 00000000CAE0: D100002F 01725FC3
	v_add_u32_e32 v185, 64, v184                               // 00000000CAE8: 697370C0
	v_cmp_lt_u32_e64 s[92:93], v185, v193                      // 00000000CAEC: D0C9005C 000383B9
	s_nop 0                                                    // 00000000CAF4: BF800000
	v_cndmask_b32_e64 v48, v195, v48, s[92:93]                 // 00000000CAF8: D1000030 017261C3
	v_add_u32_e32 v185, 0x41, v184                             // 00000000CB00: 697370FF 00000041
	v_cmp_lt_u32_e64 s[92:93], v185, v193                      // 00000000CB08: D0C9005C 000383B9
	s_nop 0                                                    // 00000000CB10: BF800000
	v_cndmask_b32_e64 v49, v195, v49, s[92:93]                 // 00000000CB14: D1000031 017263C3
	v_add_u32_e32 v185, 0x42, v184                             // 00000000CB1C: 697370FF 00000042
	v_cmp_lt_u32_e64 s[92:93], v185, v193                      // 00000000CB24: D0C9005C 000383B9
	s_nop 0                                                    // 00000000CB2C: BF800000
	v_cndmask_b32_e64 v50, v195, v50, s[92:93]                 // 00000000CB30: D1000032 017265C3
	v_add_u32_e32 v185, 0x43, v184                             // 00000000CB38: 697370FF 00000043
	v_cmp_lt_u32_e64 s[92:93], v185, v193                      // 00000000CB40: D0C9005C 000383B9
	s_nop 0                                                    // 00000000CB48: BF800000
	v_cndmask_b32_e64 v51, v195, v51, s[92:93]                 // 00000000CB4C: D1000033 017267C3
	v_add_u32_e32 v185, 0x80, v184                             // 00000000CB54: 697370FF 00000080
	v_cmp_lt_u32_e64 s[92:93], v185, v193                      // 00000000CB5C: D0C9005C 000383B9
	s_nop 0                                                    // 00000000CB64: BF800000
	v_cndmask_b32_e64 v52, v195, v52, s[92:93]                 // 00000000CB68: D1000034 017269C3
	v_add_u32_e32 v185, 0x81, v184                             // 00000000CB70: 697370FF 00000081
	v_cmp_lt_u32_e64 s[92:93], v185, v193                      // 00000000CB78: D0C9005C 000383B9
	s_nop 0                                                    // 00000000CB80: BF800000
	v_cndmask_b32_e64 v53, v195, v53, s[92:93]                 // 00000000CB84: D1000035 01726BC3
	v_add_u32_e32 v185, 0x82, v184                             // 00000000CB8C: 697370FF 00000082
	v_cmp_lt_u32_e64 s[92:93], v185, v193                      // 00000000CB94: D0C9005C 000383B9
	s_nop 0                                                    // 00000000CB9C: BF800000
	v_cndmask_b32_e64 v54, v195, v54, s[92:93]                 // 00000000CBA0: D1000036 01726DC3
	v_add_u32_e32 v185, 0x83, v184                             // 00000000CBA8: 697370FF 00000083
	v_cmp_lt_u32_e64 s[92:93], v185, v193                      // 00000000CBB0: D0C9005C 000383B9
	s_nop 0                                                    // 00000000CBB8: BF800000
	v_cndmask_b32_e64 v55, v195, v55, s[92:93]                 // 00000000CBBC: D1000037 01726FC3
	v_add_u32_e32 v185, 0xc0, v184                             // 00000000CBC4: 697370FF 000000C0
	v_cmp_lt_u32_e64 s[92:93], v185, v193                      // 00000000CBCC: D0C9005C 000383B9
	s_nop 0                                                    // 00000000CBD4: BF800000
	v_cndmask_b32_e64 v56, v195, v56, s[92:93]                 // 00000000CBD8: D1000038 017271C3
	v_add_u32_e32 v185, 0xc1, v184                             // 00000000CBE0: 697370FF 000000C1
	v_cmp_lt_u32_e64 s[92:93], v185, v193                      // 00000000CBE8: D0C9005C 000383B9
	s_nop 0                                                    // 00000000CBF0: BF800000
	v_cndmask_b32_e64 v57, v195, v57, s[92:93]                 // 00000000CBF4: D1000039 017273C3
	v_add_u32_e32 v185, 0xc2, v184                             // 00000000CBFC: 697370FF 000000C2
	v_cmp_lt_u32_e64 s[92:93], v185, v193                      // 00000000CC04: D0C9005C 000383B9
	s_nop 0                                                    // 00000000CC0C: BF800000
	v_cndmask_b32_e64 v58, v195, v58, s[92:93]                 // 00000000CC10: D100003A 017275C3
	v_add_u32_e32 v185, 0xc3, v184                             // 00000000CC18: 697370FF 000000C3
	v_cmp_lt_u32_e64 s[92:93], v185, v193                      // 00000000CC20: D0C9005C 000383B9
	s_nop 0                                                    // 00000000CC28: BF800000
	v_cndmask_b32_e64 v59, v195, v59, s[92:93]                 // 00000000CC2C: D100003B 017277C3
	v_mov_b32_e32 v148, v28                                    // 00000000CC34: 7F28031C
	v_max3_f32 v148, v28, v29, v148                            // 00000000CC38: D1D30094 06523B1C
	v_max3_f32 v148, v30, v31, v148                            // 00000000CC40: D1D30094 06523F1E
	v_max3_f32 v148, v32, v33, v148                            // 00000000CC48: D1D30094 06524320
	v_max3_f32 v148, v34, v35, v148                            // 00000000CC50: D1D30094 06524722
	v_max3_f32 v148, v36, v37, v148                            // 00000000CC58: D1D30094 06524B24
	v_max3_f32 v148, v38, v39, v148                            // 00000000CC60: D1D30094 06524F26
	v_max3_f32 v148, v40, v41, v148                            // 00000000CC68: D1D30094 06525328
	v_max3_f32 v148, v42, v43, v148                            // 00000000CC70: D1D30094 0652572A
	v_mov_b32_e32 v149, v44                                    // 00000000CC78: 7F2A032C
	v_max3_f32 v149, v44, v45, v149                            // 00000000CC7C: D1D30095 06565B2C
	v_max3_f32 v149, v46, v47, v149                            // 00000000CC84: D1D30095 06565F2E
	v_max3_f32 v149, v48, v49, v149                            // 00000000CC8C: D1D30095 06566330
	v_max3_f32 v149, v50, v51, v149                            // 00000000CC94: D1D30095 06566732
	v_max3_f32 v149, v52, v53, v149                            // 00000000CC9C: D1D30095 06566B34
	v_max3_f32 v149, v54, v55, v149                            // 00000000CCA4: D1D30095 06566F36
	v_max3_f32 v149, v56, v57, v149                            // 00000000CCAC: D1D30095 06567338
	v_max3_f32 v149, v58, v59, v149                            // 00000000CCB4: D1D30095 0656773A
	ds_write_b64 v214, v[148:149]                              // 00000000CCBC: D89A0000 000094D6
	v_pk_mul_f32 v[108:109], v[140:141], v[108:109]            // 00000000CCC4: D3B1406C 1802D98C
	v_pk_mul_f32 v[110:111], v[140:141], v[110:111]            // 00000000CCCC: D3B1406E 1802DD8C
	v_pk_mul_f32 v[112:113], v[140:141], v[112:113]            // 00000000CCD4: D3B14070 1802E18C
	v_pk_mul_f32 v[114:115], v[140:141], v[114:115]            // 00000000CCDC: D3B14072 1802E58C
	v_pk_mul_f32 v[116:117], v[142:143], v[116:117]            // 00000000CCE4: D3B14074 1802E98E
	v_pk_mul_f32 v[118:119], v[142:143], v[118:119]            // 00000000CCEC: D3B14076 1802ED8E
	v_pk_mul_f32 v[120:121], v[142:143], v[120:121]            // 00000000CCF4: D3B14078 1802F18E
	v_pk_mul_f32 v[122:123], v[142:143], v[122:123]            // 00000000CCFC: D3B1407A 1802F58E
	s_waitcnt lgkmcnt(0)                                       // 00000000CD04: BF8CC07F
	s_barrier                                                  // 00000000CD08: BF8A0000
	ds_read_b64 v[152:153], v215                               // 00000000CD0C: D8EC0000 980000D7
	ds_read_b64 v[154:155], v215 offset:128                    // 00000000CD14: D8EC0080 9A0000D7
	ds_read_b64 v[156:157], v215 offset:256                    // 00000000CD1C: D8EC0100 9C0000D7
	ds_read_b64 v[158:159], v215 offset:384                    // 00000000CD24: D8EC0180 9E0000D7
	ds_read_b64 v[160:161], v215 offset:512                    // 00000000CD2C: D8EC0200 A00000D7
	ds_read_b64 v[162:163], v215 offset:640                    // 00000000CD34: D8EC0280 A20000D7
	ds_read_b64 v[164:165], v215 offset:768                    // 00000000CD3C: D8EC0300 A40000D7
	ds_read_b64 v[166:167], v215 offset:896                    // 00000000CD44: D8EC0380 A60000D7
	ds_read_b64 v[168:169], v215 offset:1024                   // 00000000CD4C: D8EC0400 A80000D7
	ds_read_b64 v[170:171], v215 offset:1152                   // 00000000CD54: D8EC0480 AA0000D7
	ds_read_b64 v[172:173], v215 offset:1280                   // 00000000CD5C: D8EC0500 AC0000D7
	ds_read_b64 v[174:175], v215 offset:1408                   // 00000000CD64: D8EC0580 AE0000D7
	ds_read_b64 v[176:177], v215 offset:1536                   // 00000000CD6C: D8EC0600 B00000D7
	ds_read_b64 v[178:179], v215 offset:1664                   // 00000000CD74: D8EC0680 B20000D7
	ds_read_b64 v[180:181], v215 offset:1792                   // 00000000CD7C: D8EC0700 B40000D7
	ds_read_b64 v[182:183], v215 offset:1920                   // 00000000CD84: D8EC0780 B60000D7
	v_pk_mul_f32 v[92:93], v[132:133], v[92:93]                // 00000000CD8C: D3B1405C 1802B984
	v_pk_mul_f32 v[94:95], v[132:133], v[94:95]                // 00000000CD94: D3B1405E 1802BD84
	v_pk_mul_f32 v[96:97], v[132:133], v[96:97]                // 00000000CD9C: D3B14060 1802C184
	v_pk_mul_f32 v[98:99], v[132:133], v[98:99]                // 00000000CDA4: D3B14062 1802C584
	v_pk_mul_f32 v[100:101], v[134:135], v[100:101]            // 00000000CDAC: D3B14064 1802C986
	v_pk_mul_f32 v[102:103], v[134:135], v[102:103]            // 00000000CDB4: D3B14066 1802CD86
	v_pk_mul_f32 v[104:105], v[134:135], v[104:105]            // 00000000CDBC: D3B14068 1802D186
	v_pk_mul_f32 v[106:107], v[134:135], v[106:107]            // 00000000CDC4: D3B1406A 1802D586
	s_waitcnt lgkmcnt(0)                                       // 00000000CDCC: BF8CC07F
	v_max3_f32 v148, v152, v154, v148                          // 00000000CDD0: D1D30094 06533598
	v_max3_f32 v149, v153, v155, v149                          // 00000000CDD8: D1D30095 06573799
	v_max3_f32 v148, v156, v158, v148                          // 00000000CDE0: D1D30094 06533D9C
	v_max3_f32 v149, v157, v159, v149                          // 00000000CDE8: D1D30095 06573F9D
	v_max3_f32 v148, v160, v162, v148                          // 00000000CDF0: D1D30094 065345A0
	v_max3_f32 v149, v161, v163, v149                          // 00000000CDF8: D1D30095 065747A1
	v_max3_f32 v148, v164, v166, v148                          // 00000000CE00: D1D30094 06534DA4
	v_max3_f32 v149, v165, v167, v149                          // 00000000CE08: D1D30095 06574FA5
	v_max3_f32 v148, v168, v170, v148                          // 00000000CE10: D1D30094 065355A8
	v_max3_f32 v149, v169, v171, v149                          // 00000000CE18: D1D30095 065757A9
	v_max3_f32 v148, v172, v174, v148                          // 00000000CE20: D1D30094 06535DAC
	v_max3_f32 v149, v173, v175, v149                          // 00000000CE28: D1D30095 06575FAD
	v_max3_f32 v148, v176, v178, v148                          // 00000000CE30: D1D30094 065365B0
	v_max3_f32 v149, v177, v179, v149                          // 00000000CE38: D1D30095 065767B1
	v_max3_f32 v148, v180, v182, v148                          // 00000000CE40: D1D30094 06536DB4
	v_max3_f32 v149, v181, v183, v149                          // 00000000CE48: D1D30095 06576FB5
	v_max_f32_e32 v138, v148, v136                             // 00000000CE50: 17151194
	v_mul_f32_e64 v184, -s51, v138                             // 00000000CE54: D10500B8 20031433
	v_mov_b32_e32 v185, v184                                   // 00000000CE5C: 7F7203B8
	v_pk_fma_f32 v[28:29], v[28:29], s[68:69], v[184:185]      // 00000000CE60: D3B0401C 1EE0891C
	v_pk_fma_f32 v[30:31], v[30:31], s[68:69], v[184:185]      // 00000000CE68: D3B0401E 1EE0891E
	v_exp_f32_e32 v28, v28                                     // 00000000CE70: 7E38411C
	v_exp_f32_e32 v29, v29                                     // 00000000CE74: 7E3A411D
	v_exp_f32_e32 v30, v30                                     // 00000000CE78: 7E3C411E
	v_exp_f32_e32 v31, v31                                     // 00000000CE7C: 7E3E411F
	v_pk_fma_f32 v[32:33], v[32:33], s[68:69], v[184:185]      // 00000000CE80: D3B04020 1EE08920
	v_pk_fma_f32 v[34:35], v[34:35], s[68:69], v[184:185]      // 00000000CE88: D3B04022 1EE08922
	v_exp_f32_e32 v32, v32                                     // 00000000CE90: 7E404120
	v_exp_f32_e32 v33, v33                                     // 00000000CE94: 7E424121
	v_exp_f32_e32 v34, v34                                     // 00000000CE98: 7E444122
	v_exp_f32_e32 v35, v35                                     // 00000000CE9C: 7E464123
	v_pk_fma_f32 v[36:37], v[36:37], s[68:69], v[184:185]      // 00000000CEA0: D3B04024 1EE08924
	v_pk_fma_f32 v[38:39], v[38:39], s[68:69], v[184:185]      // 00000000CEA8: D3B04026 1EE08926
	v_exp_f32_e32 v36, v36                                     // 00000000CEB0: 7E484124
	v_exp_f32_e32 v37, v37                                     // 00000000CEB4: 7E4A4125
	v_exp_f32_e32 v38, v38                                     // 00000000CEB8: 7E4C4126
	v_exp_f32_e32 v39, v39                                     // 00000000CEBC: 7E4E4127
	v_pk_fma_f32 v[40:41], v[40:41], s[68:69], v[184:185]      // 00000000CEC0: D3B04028 1EE08928
	v_pk_fma_f32 v[42:43], v[42:43], s[68:69], v[184:185]      // 00000000CEC8: D3B0402A 1EE0892A
	v_exp_f32_e32 v40, v40                                     // 00000000CED0: 7E504128
	v_exp_f32_e32 v41, v41                                     // 00000000CED4: 7E524129
	v_exp_f32_e32 v42, v42                                     // 00000000CED8: 7E54412A
	v_exp_f32_e32 v43, v43                                     // 00000000CEDC: 7E56412B
	v_max_f32_e32 v139, v149, v137                             // 00000000CEE0: 17171395
	v_mul_f32_e64 v184, -s51, v139                             // 00000000CEE4: D10500B8 20031633
	v_mov_b32_e32 v185, v184                                   // 00000000CEEC: 7F7203B8
	v_pk_fma_f32 v[44:45], v[44:45], s[68:69], v[184:185]      // 00000000CEF0: D3B0402C 1EE0892C
	v_pk_fma_f32 v[46:47], v[46:47], s[68:69], v[184:185]      // 00000000CEF8: D3B0402E 1EE0892E
	v_exp_f32_e32 v44, v44                                     // 00000000CF00: 7E58412C
	v_exp_f32_e32 v45, v45                                     // 00000000CF04: 7E5A412D
	v_exp_f32_e32 v46, v46                                     // 00000000CF08: 7E5C412E
	v_exp_f32_e32 v47, v47                                     // 00000000CF0C: 7E5E412F
	v_pk_fma_f32 v[48:49], v[48:49], s[68:69], v[184:185]      // 00000000CF10: D3B04030 1EE08930
	v_pk_fma_f32 v[50:51], v[50:51], s[68:69], v[184:185]      // 00000000CF18: D3B04032 1EE08932
	v_exp_f32_e32 v48, v48                                     // 00000000CF20: 7E604130
	v_exp_f32_e32 v49, v49                                     // 00000000CF24: 7E624131
	v_exp_f32_e32 v50, v50                                     // 00000000CF28: 7E644132
	v_exp_f32_e32 v51, v51                                     // 00000000CF2C: 7E664133
	v_pk_fma_f32 v[52:53], v[52:53], s[68:69], v[184:185]      // 00000000CF30: D3B04034 1EE08934
	v_pk_fma_f32 v[54:55], v[54:55], s[68:69], v[184:185]      // 00000000CF38: D3B04036 1EE08936
	v_exp_f32_e32 v52, v52                                     // 00000000CF40: 7E684134
	v_exp_f32_e32 v53, v53                                     // 00000000CF44: 7E6A4135
	v_exp_f32_e32 v54, v54                                     // 00000000CF48: 7E6C4136
	v_exp_f32_e32 v55, v55                                     // 00000000CF4C: 7E6E4137
	v_pk_fma_f32 v[56:57], v[56:57], s[68:69], v[184:185]      // 00000000CF50: D3B04038 1EE08938
	v_pk_fma_f32 v[58:59], v[58:59], s[68:69], v[184:185]      // 00000000CF58: D3B0403A 1EE0893A
	v_exp_f32_e32 v56, v56                                     // 00000000CF60: 7E704138
	v_exp_f32_e32 v57, v57                                     // 00000000CF64: 7E724139
	v_exp_f32_e32 v58, v58                                     // 00000000CF68: 7E74413A
	v_exp_f32_e32 v59, v59                                     // 00000000CF6C: 7E76413B
	v_mul_f32_dpp v60, v131, v28 row_newbcast:0 row_mask:0xf bank_mask:0xf// 00000000CF70: 0A7838FA FF015083
	v_mul_f32_dpp v61, v131, v29 row_newbcast:1 row_mask:0xf bank_mask:0xf// 00000000CF78: 0A7A3AFA FF015183
	v_mul_f32_dpp v62, v131, v30 row_newbcast:2 row_mask:0xf bank_mask:0xf// 00000000CF80: 0A7C3CFA FF015283
	v_mul_f32_dpp v63, v131, v31 row_newbcast:3 row_mask:0xf bank_mask:0xf// 00000000CF88: 0A7E3EFA FF015383
	v_mul_f32_dpp v64, v131, v32 row_newbcast:4 row_mask:0xf bank_mask:0xf// 00000000CF90: 0A8040FA FF015483
	v_mul_f32_dpp v65, v131, v33 row_newbcast:5 row_mask:0xf bank_mask:0xf// 00000000CF98: 0A8242FA FF015583
	v_mul_f32_dpp v66, v131, v34 row_newbcast:6 row_mask:0xf bank_mask:0xf// 00000000CFA0: 0A8444FA FF015683
	v_mul_f32_dpp v67, v131, v35 row_newbcast:7 row_mask:0xf bank_mask:0xf// 00000000CFA8: 0A8646FA FF015783
	v_mul_f32_dpp v68, v131, v36 row_newbcast:8 row_mask:0xf bank_mask:0xf// 00000000CFB0: 0A8848FA FF015883
	v_mul_f32_dpp v69, v131, v37 row_newbcast:9 row_mask:0xf bank_mask:0xf// 00000000CFB8: 0A8A4AFA FF015983
	v_mul_f32_dpp v70, v131, v38 row_newbcast:10 row_mask:0xf bank_mask:0xf// 00000000CFC0: 0A8C4CFA FF015A83
	v_mul_f32_dpp v71, v131, v39 row_newbcast:11 row_mask:0xf bank_mask:0xf// 00000000CFC8: 0A8E4EFA FF015B83
	v_mul_f32_dpp v72, v131, v40 row_newbcast:12 row_mask:0xf bank_mask:0xf// 00000000CFD0: 0A9050FA FF015C83
	v_mul_f32_dpp v73, v131, v41 row_newbcast:13 row_mask:0xf bank_mask:0xf// 00000000CFD8: 0A9252FA FF015D83
	v_mul_f32_dpp v74, v131, v42 row_newbcast:14 row_mask:0xf bank_mask:0xf// 00000000CFE0: 0A9454FA FF015E83
	v_mul_f32_dpp v75, v131, v43 row_newbcast:15 row_mask:0xf bank_mask:0xf// 00000000CFE8: 0A9656FA FF015F83
	v_mul_f32_dpp v76, v131, v44 row_newbcast:0 row_mask:0xf bank_mask:0xf// 00000000CFF0: 0A9858FA FF015083
	v_mul_f32_dpp v77, v131, v45 row_newbcast:1 row_mask:0xf bank_mask:0xf// 00000000CFF8: 0A9A5AFA FF015183
	v_mul_f32_dpp v78, v131, v46 row_newbcast:2 row_mask:0xf bank_mask:0xf// 00000000D000: 0A9C5CFA FF015283
	v_mul_f32_dpp v79, v131, v47 row_newbcast:3 row_mask:0xf bank_mask:0xf// 00000000D008: 0A9E5EFA FF015383
	v_mul_f32_dpp v80, v131, v48 row_newbcast:4 row_mask:0xf bank_mask:0xf// 00000000D010: 0AA060FA FF015483
	v_mul_f32_dpp v81, v131, v49 row_newbcast:5 row_mask:0xf bank_mask:0xf// 00000000D018: 0AA262FA FF015583
	v_mul_f32_dpp v82, v131, v50 row_newbcast:6 row_mask:0xf bank_mask:0xf// 00000000D020: 0AA464FA FF015683
	v_mul_f32_dpp v83, v131, v51 row_newbcast:7 row_mask:0xf bank_mask:0xf// 00000000D028: 0AA666FA FF015783
	v_mul_f32_dpp v84, v131, v52 row_newbcast:8 row_mask:0xf bank_mask:0xf// 00000000D030: 0AA868FA FF015883
	v_mul_f32_dpp v85, v131, v53 row_newbcast:9 row_mask:0xf bank_mask:0xf// 00000000D038: 0AAA6AFA FF015983
	v_mul_f32_dpp v86, v131, v54 row_newbcast:10 row_mask:0xf bank_mask:0xf// 00000000D040: 0AAC6CFA FF015A83
	v_mul_f32_dpp v87, v131, v55 row_newbcast:11 row_mask:0xf bank_mask:0xf// 00000000D048: 0AAE6EFA FF015B83
	v_mul_f32_dpp v88, v131, v56 row_newbcast:12 row_mask:0xf bank_mask:0xf// 00000000D050: 0AB070FA FF015C83
	v_mul_f32_dpp v89, v131, v57 row_newbcast:13 row_mask:0xf bank_mask:0xf// 00000000D058: 0AB272FA FF015D83
	v_mul_f32_dpp v90, v131, v58 row_newbcast:14 row_mask:0xf bank_mask:0xf// 00000000D060: 0AB474FA FF015E83
	v_mul_f32_dpp v91, v131, v59 row_newbcast:15 row_mask:0xf bank_mask:0xf// 00000000D068: 0AB676FA FF015F83
	v_mov_b32_e32 v148, 0x358637bd                             // 00000000D070: 7F2802FF 358637BD
	v_max3_f32 v148, |v60|, |v61|, v148                        // 00000000D078: D1D30394 06527B3C
	v_max3_f32 v148, |v62|, |v63|, v148                        // 00000000D080: D1D30394 06527F3E
	v_max3_f32 v148, |v64|, |v65|, v148                        // 00000000D088: D1D30394 06528340
	v_max3_f32 v148, |v66|, |v67|, v148                        // 00000000D090: D1D30394 06528742
	v_max3_f32 v148, |v68|, |v69|, v148                        // 00000000D098: D1D30394 06528B44
	v_max3_f32 v148, |v70|, |v71|, v148                        // 00000000D0A0: D1D30394 06528F46
	v_max3_f32 v148, |v72|, |v73|, v148                        // 00000000D0A8: D1D30394 06529348
	v_max3_f32 v148, |v74|, |v75|, v148                        // 00000000D0B0: D1D30394 0652974A
	v_mov_b32_e32 v149, 0x358637bd                             // 00000000D0B8: 7F2A02FF 358637BD
	v_max3_f32 v149, |v76|, |v77|, v149                        // 00000000D0C0: D1D30395 06569B4C
	v_max3_f32 v149, |v78|, |v79|, v149                        // 00000000D0C8: D1D30395 06569F4E
	v_max3_f32 v149, |v80|, |v81|, v149                        // 00000000D0D0: D1D30395 0656A350
	v_max3_f32 v149, |v82|, |v83|, v149                        // 00000000D0D8: D1D30395 0656A752
	v_max3_f32 v149, |v84|, |v85|, v149                        // 00000000D0E0: D1D30395 0656AB54
	v_max3_f32 v149, |v86|, |v87|, v149                        // 00000000D0E8: D1D30395 0656AF56
	v_max3_f32 v149, |v88|, |v89|, v149                        // 00000000D0F0: D1D30395 0656B358
	v_max3_f32 v149, |v90|, |v91|, v149                        // 00000000D0F8: D1D30395 0656B75A
	ds_write_b64 v214, v[148:149] offset:2304                  // 00000000D100: D89A0900 000094D6
	buffer_load_dword v128, v206, s[28:31], 0 offen            // 00000000D108: E0501000 800780CE
	v_sub_f32_e32 v140, v136, v138                             // 00000000D110: 05191588
	v_cmp_eq_u32_e64 s[92:93], v195, v136                      // 00000000D114: D0CA005C 000311C3
	s_nop 0                                                    // 00000000D11C: BF800000
	v_cndmask_b32_e64 v140, v140, 0, s[92:93]                  // 00000000D120: D100008C 0171018C
	v_mov_b32_e32 v136, v138                                   // 00000000D128: 7F10038A
	v_mul_f32_e32 v140, s51, v140                              // 00000000D12C: 0B191833
	v_exp_f32_e32 v140, v140                                   // 00000000D130: 7F18418C
	v_sub_f32_e32 v142, v137, v139                             // 00000000D134: 051D1789
	v_cmp_eq_u32_e64 s[92:93], v195, v137                      // 00000000D138: D0CA005C 000313C3
	s_nop 0                                                    // 00000000D140: BF800000
	v_cndmask_b32_e64 v142, v142, 0, s[92:93]                  // 00000000D144: D100008E 0171018E
	v_mov_b32_e32 v137, v139                                   // 00000000D14C: 7F12038B
	v_mul_f32_e32 v142, s51, v142                              // 00000000D150: 0B1D1C33
	v_exp_f32_e32 v142, v142                                   // 00000000D154: 7F1C418E
	v_mov_b32_e32 v141, v140                                   // 00000000D158: 7F1A038C
	v_mov_b32_e32 v143, v142                                   // 00000000D15C: 7F1E038E
	buffer_load_dword v130, v207, s[32:35], 0 offen            // 00000000D160: E0501000 800882CF
	s_waitcnt lgkmcnt(0)                                       // 00000000D168: BF8CC07F
	s_barrier                                                  // 00000000D16C: BF8A0000
	ds_read_b64 v[152:153], v215 offset:2304                   // 00000000D170: D8EC0900 980000D7
	ds_read_b64 v[154:155], v215 offset:2432                   // 00000000D178: D8EC0980 9A0000D7
	ds_read_b64 v[156:157], v215 offset:2560                   // 00000000D180: D8EC0A00 9C0000D7
	ds_read_b64 v[158:159], v215 offset:2688                   // 00000000D188: D8EC0A80 9E0000D7
	ds_read_b64 v[160:161], v215 offset:2816                   // 00000000D190: D8EC0B00 A00000D7
	ds_read_b64 v[162:163], v215 offset:2944                   // 00000000D198: D8EC0B80 A20000D7
	ds_read_b64 v[164:165], v215 offset:3072                   // 00000000D1A0: D8EC0C00 A40000D7
	ds_read_b64 v[166:167], v215 offset:3200                   // 00000000D1A8: D8EC0C80 A60000D7
	ds_read_b64 v[168:169], v215 offset:3328                   // 00000000D1B0: D8EC0D00 A80000D7
	ds_read_b64 v[170:171], v215 offset:3456                   // 00000000D1B8: D8EC0D80 AA0000D7
	ds_read_b64 v[172:173], v215 offset:3584                   // 00000000D1C0: D8EC0E00 AC0000D7
	ds_read_b64 v[174:175], v215 offset:3712                   // 00000000D1C8: D8EC0E80 AE0000D7
	ds_read_b64 v[176:177], v215 offset:3840                   // 00000000D1D0: D8EC0F00 B00000D7
	ds_read_b64 v[178:179], v215 offset:3968                   // 00000000D1D8: D8EC0F80 B20000D7
	ds_read_b64 v[180:181], v215 offset:4096                   // 00000000D1E0: D8EC1000 B40000D7
	ds_read_b64 v[182:183], v215 offset:4224                   // 00000000D1E8: D8EC1080 B60000D7
	v_mul_f32_e32 v144, v140, v144                             // 00000000D1F0: 0B21218C
	v_add_f32_e32 v144, v28, v144                              // 00000000D1F4: 0321211C
	v_add_f32_e32 v144, v29, v144                              // 00000000D1F8: 0321211D
	v_add_f32_e32 v144, v30, v144                              // 00000000D1FC: 0321211E
	v_add_f32_e32 v144, v31, v144                              // 00000000D200: 0321211F
	v_add_f32_e32 v144, v32, v144                              // 00000000D204: 03212120
	v_add_f32_e32 v144, v33, v144                              // 00000000D208: 03212121
	v_add_f32_e32 v144, v34, v144                              // 00000000D20C: 03212122
	v_add_f32_e32 v144, v35, v144                              // 00000000D210: 03212123
	v_add_f32_e32 v144, v36, v144                              // 00000000D214: 03212124
	v_add_f32_e32 v144, v37, v144                              // 00000000D218: 03212125
	v_add_f32_e32 v144, v38, v144                              // 00000000D21C: 03212126
	v_add_f32_e32 v144, v39, v144                              // 00000000D220: 03212127
	v_add_f32_e32 v144, v40, v144                              // 00000000D224: 03212128
	v_add_f32_e32 v144, v41, v144                              // 00000000D228: 03212129
	v_add_f32_e32 v144, v42, v144                              // 00000000D22C: 0321212A
	v_add_f32_e32 v144, v43, v144                              // 00000000D230: 0321212B
	v_mul_f32_e32 v145, v142, v145                             // 00000000D234: 0B23238E
	v_add_f32_e32 v145, v44, v145                              // 00000000D238: 0323232C
	v_add_f32_e32 v145, v45, v145                              // 00000000D23C: 0323232D
	v_add_f32_e32 v145, v46, v145                              // 00000000D240: 0323232E
	v_add_f32_e32 v145, v47, v145                              // 00000000D244: 0323232F
	v_add_f32_e32 v145, v48, v145                              // 00000000D248: 03232330
	v_add_f32_e32 v145, v49, v145                              // 00000000D24C: 03232331
	v_add_f32_e32 v145, v50, v145                              // 00000000D250: 03232332
	v_add_f32_e32 v145, v51, v145                              // 00000000D254: 03232333
	v_add_f32_e32 v145, v52, v145                              // 00000000D258: 03232334
	v_add_f32_e32 v145, v53, v145                              // 00000000D25C: 03232335
	v_add_f32_e32 v145, v54, v145                              // 00000000D260: 03232336
	v_add_f32_e32 v145, v55, v145                              // 00000000D264: 03232337
	v_add_f32_e32 v145, v56, v145                              // 00000000D268: 03232338
	v_add_f32_e32 v145, v57, v145                              // 00000000D26C: 03232339
	v_add_f32_e32 v145, v58, v145                              // 00000000D270: 0323233A
	v_add_f32_e32 v145, v59, v145                              // 00000000D274: 0323233B
	s_waitcnt lgkmcnt(0)                                       // 00000000D278: BF8CC07F
	v_max3_f32 v148, v152, v154, v148                          // 00000000D27C: D1D30094 06533598
	v_max3_f32 v149, v153, v155, v149                          // 00000000D284: D1D30095 06573799
	v_max3_f32 v148, v156, v158, v148                          // 00000000D28C: D1D30094 06533D9C
	v_max3_f32 v149, v157, v159, v149                          // 00000000D294: D1D30095 06573F9D
	v_max3_f32 v148, v160, v162, v148                          // 00000000D29C: D1D30094 065345A0
	v_max3_f32 v149, v161, v163, v149                          // 00000000D2A4: D1D30095 065747A1
	v_max3_f32 v148, v164, v166, v148                          // 00000000D2AC: D1D30094 06534DA4
	v_max3_f32 v149, v165, v167, v149                          // 00000000D2B4: D1D30095 06574FA5
	v_max3_f32 v148, v168, v170, v148                          // 00000000D2BC: D1D30094 065355A8
	v_max3_f32 v149, v169, v171, v149                          // 00000000D2C4: D1D30095 065757A9
	v_max3_f32 v148, v172, v174, v148                          // 00000000D2CC: D1D30094 06535DAC
	v_max3_f32 v149, v173, v175, v149                          // 00000000D2D4: D1D30095 06575FAD
	v_max3_f32 v148, v176, v178, v148                          // 00000000D2DC: D1D30094 065365B0
	v_max3_f32 v149, v177, v179, v149                          // 00000000D2E4: D1D30095 065767B1
	v_max3_f32 v148, v180, v182, v148                          // 00000000D2EC: D1D30094 06536DB4
	v_max3_f32 v149, v181, v183, v149                          // 00000000D2F4: D1D30095 06576FB5
	v_rcp_f32_e32 v148, v148                                   // 00000000D2FC: 7F284594
	v_rcp_f32_e32 v149, v149                                   // 00000000D300: 7F2A4595
	v_mul_f32_e32 v148, 0x43700000, v148                       // 00000000D304: 0B2928FF 43700000
	v_mul_f32_e32 v149, 0x43700000, v149                       // 00000000D30C: 0B2B2AFF 43700000
	v_mov_b32_e32 v150, v149                                   // 00000000D314: 7F2C0395
	v_mov_b32_e32 v151, v149                                   // 00000000D318: 7F2E0395
	v_mov_b32_e32 v149, v148                                   // 00000000D31C: 7F2A0394
	v_pk_mul_f32 v[28:29], v[148:149], v[60:61]                // 00000000D320: D3B1401C 18027994
	v_pk_mul_f32 v[30:31], v[148:149], v[62:63]                // 00000000D328: D3B1401E 18027D94
	v_pk_mul_f32 v[32:33], v[148:149], v[64:65]                // 00000000D330: D3B14020 18028194
	v_pk_mul_f32 v[34:35], v[148:149], v[66:67]                // 00000000D338: D3B14022 18028594
	v_pk_mul_f32 v[36:37], v[148:149], v[68:69]                // 00000000D340: D3B14024 18028994
	v_pk_mul_f32 v[38:39], v[148:149], v[70:71]                // 00000000D348: D3B14026 18028D94
	v_pk_mul_f32 v[40:41], v[148:149], v[72:73]                // 00000000D350: D3B14028 18029194
	v_pk_mul_f32 v[42:43], v[148:149], v[74:75]                // 00000000D358: D3B1402A 18029594
	v_pk_mul_f32 v[44:45], v[150:151], v[76:77]                // 00000000D360: D3B1402C 18029996
	v_pk_mul_f32 v[46:47], v[150:151], v[78:79]                // 00000000D368: D3B1402E 18029D96
	v_pk_mul_f32 v[48:49], v[150:151], v[80:81]                // 00000000D370: D3B14030 1802A196
	v_pk_mul_f32 v[50:51], v[150:151], v[82:83]                // 00000000D378: D3B14032 1802A596
	v_pk_mul_f32 v[52:53], v[150:151], v[84:85]                // 00000000D380: D3B14034 1802A996
	v_pk_mul_f32 v[54:55], v[150:151], v[86:87]                // 00000000D388: D3B14036 1802AD96
	v_pk_mul_f32 v[56:57], v[150:151], v[88:89]                // 00000000D390: D3B14038 1802B196
	v_pk_mul_f32 v[58:59], v[150:151], v[90:91]                // 00000000D398: D3B1403A 1802B596
	v_cvt_pk_fp8_f32 v28, v28, v29                             // 00000000D3A0: D2A2001C 00023B1C
	v_cvt_pk_fp8_f32 v28, v30, v31 op_sel:[0,0,1]              // 00000000D3A8: D2A2401C 00023F1E
	v_cvt_pk_fp8_f32 v29, v32, v33                             // 00000000D3B0: D2A2001D 00024320
	v_cvt_pk_fp8_f32 v29, v34, v35 op_sel:[0,0,1]              // 00000000D3B8: D2A2401D 00024722
	v_cvt_pk_fp8_f32 v30, v36, v37                             // 00000000D3C0: D2A2001E 00024B24
	v_cvt_pk_fp8_f32 v30, v38, v39 op_sel:[0,0,1]              // 00000000D3C8: D2A2401E 00024F26
	v_cvt_pk_fp8_f32 v31, v40, v41                             // 00000000D3D0: D2A2001F 00025328
	v_cvt_pk_fp8_f32 v31, v42, v43 op_sel:[0,0,1]              // 00000000D3D8: D2A2401F 0002572A
	v_cvt_pk_fp8_f32 v32, v44, v45                             // 00000000D3E0: D2A20020 00025B2C
	v_cvt_pk_fp8_f32 v32, v46, v47 op_sel:[0,0,1]              // 00000000D3E8: D2A24020 00025F2E
	v_cvt_pk_fp8_f32 v33, v48, v49                             // 00000000D3F0: D2A20021 00026330
	v_cvt_pk_fp8_f32 v33, v50, v51 op_sel:[0,0,1]              // 00000000D3F8: D2A24021 00026732
	v_cvt_pk_fp8_f32 v34, v52, v53                             // 00000000D400: D2A20022 00026B34
	v_cvt_pk_fp8_f32 v34, v54, v55 op_sel:[0,0,1]              // 00000000D408: D2A24022 00026F36
	v_cvt_pk_fp8_f32 v35, v56, v57                             // 00000000D410: D2A20023 00027338
	v_cvt_pk_fp8_f32 v35, v58, v59 op_sel:[0,0,1]              // 00000000D418: D2A24023 0002773A
	ds_write_b32 v216, v28 offset:4608                         // 00000000D420: D81A1200 00001CD8
	ds_write_b32 v216, v29 offset:5632                         // 00000000D428: D81A1600 00001DD8
	ds_write_b32 v216, v30 offset:6656                         // 00000000D430: D81A1A00 00001ED8
	ds_write_b32 v216, v31 offset:7680                         // 00000000D438: D81A1E00 00001FD8
	ds_write_b32 v216, v32 offset:8704                         // 00000000D440: D81A2200 000020D8
	ds_write_b32 v216, v33 offset:9728                         // 00000000D448: D81A2600 000021D8
	ds_write_b32 v216, v34 offset:10752                        // 00000000D450: D81A2A00 000022D8
	ds_write_b32 v216, v35 offset:11776                        // 00000000D458: D81A2E00 000023D8
	v_rcp_f32_e32 v132, v148                                   // 00000000D460: 7F084594
	v_rcp_f32_e32 v134, v150                                   // 00000000D464: 7F0C4596
	v_mov_b32_e32 v133, v132                                   // 00000000D468: 7F0A0384
	v_mov_b32_e32 v135, v134                                   // 00000000D46C: 7F0E0386
	v_pk_add_f32 v[108:109], v[108:109], v[92:93]              // 00000000D470: D3B2406C 1802B96C
	v_pk_add_f32 v[110:111], v[110:111], v[94:95]              // 00000000D478: D3B2406E 1802BD6E
	v_pk_add_f32 v[112:113], v[112:113], v[96:97]              // 00000000D480: D3B24070 1802C170
	v_pk_add_f32 v[114:115], v[114:115], v[98:99]              // 00000000D488: D3B24072 1802C572
	v_pk_add_f32 v[116:117], v[116:117], v[100:101]            // 00000000D490: D3B24074 1802C974
	v_pk_add_f32 v[118:119], v[118:119], v[102:103]            // 00000000D498: D3B24076 1802CD76
	v_pk_add_f32 v[120:121], v[120:121], v[104:105]            // 00000000D4A0: D3B24078 1802D178
	v_pk_add_f32 v[122:123], v[122:123], v[106:107]            // 00000000D4A8: D3B2407A 1802D57A
	s_waitcnt lgkmcnt(0)                                       // 00000000D4B0: BF8CC07F
	s_barrier                                                  // 00000000D4B4: BF8A0000
	ds_read_b128 v[28:31], v217 offset:4608                    // 00000000D4B8: D9FE1200 1C0000D9
	ds_read_b128 v[32:35], v217 offset:5632                    // 00000000D4C0: D9FE1600 200000D9
	ds_read_b128 v[36:39], v217 offset:6656                    // 00000000D4C8: D9FE1A00 240000D9
	ds_read_b128 v[40:43], v217 offset:7680                    // 00000000D4D0: D9FE1E00 280000D9
	ds_read_b128 v[44:47], v217 offset:8704                    // 00000000D4D8: D9FE2200 2C0000D9
	ds_read_b128 v[48:51], v217 offset:9728                    // 00000000D4E0: D9FE2600 300000D9
	ds_read_b128 v[52:55], v217 offset:10752                   // 00000000D4E8: D9FE2A00 340000D9
	ds_read_b128 v[56:59], v217 offset:11776                   // 00000000D4F0: D9FE2E00 380000D9
	s_waitcnt vmcnt(10)                                        // 00000000D4F8: BF8C0F7A
	s_waitcnt lgkmcnt(7)                                       // 00000000D4FC: BF8CC77F
	v_mfma_f32_16x16x32_fp8_fp8 v[92:95], a[96:97], v[28:29], 0// 00000000D500: D3F3005C 0A023960
	v_mfma_f32_16x16x32_fp8_fp8 v[96:99], a[112:113], v[28:29], 0// 00000000D508: D3F30060 0A023970
	v_mfma_f32_16x16x32_fp8_fp8 v[92:95], a[98:99], v[30:31], v[92:95]// 00000000D510: D3F3005C 0D723D62
	buffer_load_dwordx4 a[64:67], v202, s[16:19], 0 offen      // 00000000D518: E05C1000 808440CA
	v_mfma_f32_16x16x32_fp8_fp8 v[96:99], a[114:115], v[30:31], v[96:99]// 00000000D520: D3F30060 0D823D72
	s_waitcnt lgkmcnt(6)                                       // 00000000D528: BF8CC67F
	v_mfma_f32_16x16x32_fp8_fp8 v[92:95], a[100:101], v[32:33], v[92:95]// 00000000D52C: D3F3005C 0D724164
	v_mfma_f32_16x16x32_fp8_fp8 v[96:99], a[116:117], v[32:33], v[96:99]// 00000000D534: D3F30060 0D824174
	v_mfma_f32_16x16x32_fp8_fp8 v[92:95], a[102:103], v[34:35], v[92:95]// 00000000D53C: D3F3005C 0D724566
	buffer_load_dwordx4 a[68:71], v203, s[16:19], 0 offen      // 00000000D544: E05C1000 808444CB
	v_mfma_f32_16x16x32_fp8_fp8 v[96:99], a[118:119], v[34:35], v[96:99]// 00000000D54C: D3F30060 0D824576
	s_waitcnt lgkmcnt(5)                                       // 00000000D554: BF8CC57F
	v_mfma_f32_16x16x32_fp8_fp8 v[92:95], a[104:105], v[36:37], v[92:95]// 00000000D558: D3F3005C 0D724968
	v_mfma_f32_16x16x32_fp8_fp8 v[96:99], a[120:121], v[36:37], v[96:99]// 00000000D560: D3F30060 0D824978
	v_mfma_f32_16x16x32_fp8_fp8 v[92:95], a[106:107], v[38:39], v[92:95]// 00000000D568: D3F3005C 0D724D6A
	buffer_load_dwordx4 a[72:75], v204, s[16:19], 0 offen      // 00000000D570: E05C1000 808448CC
	v_mfma_f32_16x16x32_fp8_fp8 v[96:99], a[122:123], v[38:39], v[96:99]// 00000000D578: D3F30060 0D824D7A
	s_waitcnt lgkmcnt(4)                                       // 00000000D580: BF8CC47F
	v_mfma_f32_16x16x32_fp8_fp8 v[92:95], a[108:109], v[40:41], v[92:95]// 00000000D584: D3F3005C 0D72516C
	v_mfma_f32_16x16x32_fp8_fp8 v[96:99], a[124:125], v[40:41], v[96:99]// 00000000D58C: D3F30060 0D82517C
	v_mfma_f32_16x16x32_fp8_fp8 v[92:95], a[110:111], v[42:43], v[92:95]// 00000000D594: D3F3005C 0D72556E
	buffer_load_dwordx4 a[76:79], v205, s[16:19], 0 offen      // 00000000D59C: E05C1000 80844CCD
	v_mfma_f32_16x16x32_fp8_fp8 v[96:99], a[126:127], v[42:43], v[96:99]// 00000000D5A4: D3F30060 0D82557E
	s_waitcnt lgkmcnt(3)                                       // 00000000D5AC: BF8CC37F
	v_mfma_f32_16x16x32_fp8_fp8 v[100:103], a[96:97], v[44:45], 0// 00000000D5B0: D3F30064 0A025960
	v_mfma_f32_16x16x32_fp8_fp8 v[104:107], a[112:113], v[44:45], 0// 00000000D5B8: D3F30068 0A025970
	v_mfma_f32_16x16x32_fp8_fp8 v[100:103], a[98:99], v[46:47], v[100:103]// 00000000D5C0: D3F30064 0D925D62
	buffer_load_dwordx4 a[80:83], v202, s[16:19], 0 offen offset:1024// 00000000D5C8: E05C1400 808450CA
	v_mfma_f32_16x16x32_fp8_fp8 v[104:107], a[114:115], v[46:47], v[104:107]// 00000000D5D0: D3F30068 0DA25D72
	s_waitcnt lgkmcnt(2)                                       // 00000000D5D8: BF8CC27F
	v_mfma_f32_16x16x32_fp8_fp8 v[100:103], a[100:101], v[48:49], v[100:103]// 00000000D5DC: D3F30064 0D926164
	v_mfma_f32_16x16x32_fp8_fp8 v[104:107], a[116:117], v[48:49], v[104:107]// 00000000D5E4: D3F30068 0DA26174
	v_mfma_f32_16x16x32_fp8_fp8 v[100:103], a[102:103], v[50:51], v[100:103]// 00000000D5EC: D3F30064 0D926566
	buffer_load_dwordx4 a[84:87], v203, s[16:19], 0 offen offset:1024// 00000000D5F4: E05C1400 808454CB
	v_mfma_f32_16x16x32_fp8_fp8 v[104:107], a[118:119], v[50:51], v[104:107]// 00000000D5FC: D3F30068 0DA26576
	s_waitcnt lgkmcnt(1)                                       // 00000000D604: BF8CC17F
	v_mfma_f32_16x16x32_fp8_fp8 v[100:103], a[104:105], v[52:53], v[100:103]// 00000000D608: D3F30064 0D926968
	v_mfma_f32_16x16x32_fp8_fp8 v[104:107], a[120:121], v[52:53], v[104:107]// 00000000D610: D3F30068 0DA26978
	v_mfma_f32_16x16x32_fp8_fp8 v[100:103], a[106:107], v[54:55], v[100:103]// 00000000D618: D3F30064 0D926D6A
	buffer_load_dwordx4 a[88:91], v204, s[16:19], 0 offen offset:1024// 00000000D620: E05C1400 808458CC
	v_mfma_f32_16x16x32_fp8_fp8 v[104:107], a[122:123], v[54:55], v[104:107]// 00000000D628: D3F30068 0DA26D7A
	s_waitcnt lgkmcnt(0)                                       // 00000000D630: BF8CC07F
	v_mfma_f32_16x16x32_fp8_fp8 v[100:103], a[108:109], v[56:57], v[100:103]// 00000000D634: D3F30064 0D92716C
	v_mfma_f32_16x16x32_fp8_fp8 v[104:107], a[124:125], v[56:57], v[104:107]// 00000000D63C: D3F30068 0DA2717C
	v_mfma_f32_16x16x32_fp8_fp8 v[100:103], a[110:111], v[58:59], v[100:103]// 00000000D644: D3F30064 0D92756E
	buffer_load_dwordx4 a[92:95], v205, s[16:19], 0 offen offset:1024// 00000000D64C: E05C1400 80845CCD
	v_mfma_f32_16x16x32_fp8_fp8 v[104:107], a[126:127], v[58:59], v[104:107]// 00000000D654: D3F30068 0DA2757E
	s_addk_i32 s49, 0x100                                      // 00000000D65C: B7310100
	s_branch label_2D59                                        // 00000000D660: BF820000

000000000000d664 <label_2D59>:
	s_waitcnt vmcnt(10)                                        // 00000000D664: BF8C0F7A
	v_mfma_f32_16x16x32_fp8_fp8 v[28:31], a[0:1], v[12:13], 0  // 00000000D668: D3F3001C 0A021900
	v_mfma_f32_16x16x32_fp8_fp8 v[28:31], a[2:3], v[14:15], v[28:31]// 00000000D670: D3F3001C 0C721D02
	v_mfma_f32_16x16x32_fp8_fp8 v[28:31], a[4:5], v[16:17], v[28:31]// 00000000D678: D3F3001C 0C722104
	v_mfma_f32_16x16x32_fp8_fp8 v[28:31], a[6:7], v[18:19], v[28:31]// 00000000D680: D3F3001C 0C722506
	v_mfma_f32_16x16x32_fp8_fp8 v[32:35], a[8:9], v[12:13], 0  // 00000000D688: D3F30020 0A021908
	v_mfma_f32_16x16x32_fp8_fp8 v[32:35], a[10:11], v[14:15], v[32:35]// 00000000D690: D3F30020 0C821D0A
	v_mfma_f32_16x16x32_fp8_fp8 v[32:35], a[12:13], v[16:17], v[32:35]// 00000000D698: D3F30020 0C82210C
	v_mfma_f32_16x16x32_fp8_fp8 v[32:35], a[14:15], v[18:19], v[32:35]// 00000000D6A0: D3F30020 0C82250E
	v_mfma_f32_16x16x32_fp8_fp8 v[36:39], a[16:17], v[12:13], 0// 00000000D6A8: D3F30024 0A021910
	v_mfma_f32_16x16x32_fp8_fp8 v[36:39], a[18:19], v[14:15], v[36:39]// 00000000D6B0: D3F30024 0C921D12
	v_mfma_f32_16x16x32_fp8_fp8 v[36:39], a[20:21], v[16:17], v[36:39]// 00000000D6B8: D3F30024 0C922114
	v_mfma_f32_16x16x32_fp8_fp8 v[36:39], a[22:23], v[18:19], v[36:39]// 00000000D6C0: D3F30024 0C922516
	v_mfma_f32_16x16x32_fp8_fp8 v[40:43], a[24:25], v[12:13], 0// 00000000D6C8: D3F30028 0A021918
	v_mfma_f32_16x16x32_fp8_fp8 v[40:43], a[26:27], v[14:15], v[40:43]// 00000000D6D0: D3F30028 0CA21D1A
	v_mfma_f32_16x16x32_fp8_fp8 v[40:43], a[28:29], v[16:17], v[40:43]// 00000000D6D8: D3F30028 0CA2211C
	v_mfma_f32_16x16x32_fp8_fp8 v[40:43], a[30:31], v[18:19], v[40:43]// 00000000D6E0: D3F30028 0CA2251E
	v_mfma_f32_16x16x32_fp8_fp8 v[44:47], a[0:1], v[20:21], 0  // 00000000D6E8: D3F3002C 0A022900
	v_mfma_f32_16x16x32_fp8_fp8 v[44:47], a[2:3], v[22:23], v[44:47]// 00000000D6F0: D3F3002C 0CB22D02
	v_mfma_f32_16x16x32_fp8_fp8 v[44:47], a[4:5], v[24:25], v[44:47]// 00000000D6F8: D3F3002C 0CB23104
	v_mfma_f32_16x16x32_fp8_fp8 v[44:47], a[6:7], v[26:27], v[44:47]// 00000000D700: D3F3002C 0CB23506
	v_mfma_f32_16x16x32_fp8_fp8 v[48:51], a[8:9], v[20:21], 0  // 00000000D708: D3F30030 0A022908
	v_mfma_f32_16x16x32_fp8_fp8 v[48:51], a[10:11], v[22:23], v[48:51]// 00000000D710: D3F30030 0CC22D0A
	v_mfma_f32_16x16x32_fp8_fp8 v[48:51], a[12:13], v[24:25], v[48:51]// 00000000D718: D3F30030 0CC2310C
	v_mfma_f32_16x16x32_fp8_fp8 v[48:51], a[14:15], v[26:27], v[48:51]// 00000000D720: D3F30030 0CC2350E
	v_mfma_f32_16x16x32_fp8_fp8 v[52:55], a[16:17], v[20:21], 0// 00000000D728: D3F30034 0A022910
	v_mfma_f32_16x16x32_fp8_fp8 v[52:55], a[18:19], v[22:23], v[52:55]// 00000000D730: D3F30034 0CD22D12
	v_mfma_f32_16x16x32_fp8_fp8 v[52:55], a[20:21], v[24:25], v[52:55]// 00000000D738: D3F30034 0CD23114
	v_mfma_f32_16x16x32_fp8_fp8 v[52:55], a[22:23], v[26:27], v[52:55]// 00000000D740: D3F30034 0CD23516
	v_mfma_f32_16x16x32_fp8_fp8 v[56:59], a[24:25], v[20:21], 0// 00000000D748: D3F30038 0A022918
	v_mfma_f32_16x16x32_fp8_fp8 v[56:59], a[26:27], v[22:23], v[56:59]// 00000000D750: D3F30038 0CE22D1A
	v_mfma_f32_16x16x32_fp8_fp8 v[56:59], a[28:29], v[24:25], v[56:59]// 00000000D758: D3F30038 0CE2311C
	v_mfma_f32_16x16x32_fp8_fp8 v[56:59], a[30:31], v[26:27], v[56:59]// 00000000D760: D3F30038 0CE2351E
	s_waitcnt vmcnt(8)                                         // 00000000D768: BF8C0F78
	v_pk_mul_f32 v[28:29], v[124:125], v[28:29]                // 00000000D76C: D3B1401C 1802397C
	v_pk_mul_f32 v[30:31], v[124:125], v[30:31]                // 00000000D774: D3B1401E 18023D7C
	v_mul_f32_dpp v28, v128, v28 row_newbcast:0 row_mask:0xf bank_mask:0xf// 00000000D77C: 0A3838FA FF015080
	v_mul_f32_dpp v29, v128, v29 row_newbcast:1 row_mask:0xf bank_mask:0xf// 00000000D784: 0A3A3AFA FF015180
	v_mul_f32_dpp v30, v128, v30 row_newbcast:2 row_mask:0xf bank_mask:0xf// 00000000D78C: 0A3C3CFA FF015280
	v_mul_f32_dpp v31, v128, v31 row_newbcast:3 row_mask:0xf bank_mask:0xf// 00000000D794: 0A3E3EFA FF015380
	v_pk_mul_f32 v[32:33], v[124:125], v[32:33]                // 00000000D79C: D3B14020 1802417C
	v_pk_mul_f32 v[34:35], v[124:125], v[34:35]                // 00000000D7A4: D3B14022 1802457C
	v_mul_f32_dpp v32, v128, v32 row_newbcast:4 row_mask:0xf bank_mask:0xf// 00000000D7AC: 0A4040FA FF015480
	v_mul_f32_dpp v33, v128, v33 row_newbcast:5 row_mask:0xf bank_mask:0xf// 00000000D7B4: 0A4242FA FF015580
	v_mul_f32_dpp v34, v128, v34 row_newbcast:6 row_mask:0xf bank_mask:0xf// 00000000D7BC: 0A4444FA FF015680
	v_mul_f32_dpp v35, v128, v35 row_newbcast:7 row_mask:0xf bank_mask:0xf// 00000000D7C4: 0A4646FA FF015780
	v_pk_mul_f32 v[36:37], v[124:125], v[36:37]                // 00000000D7CC: D3B14024 1802497C
	v_pk_mul_f32 v[38:39], v[124:125], v[38:39]                // 00000000D7D4: D3B14026 18024D7C
	v_mul_f32_dpp v36, v128, v36 row_newbcast:8 row_mask:0xf bank_mask:0xf// 00000000D7DC: 0A4848FA FF015880
	v_mul_f32_dpp v37, v128, v37 row_newbcast:9 row_mask:0xf bank_mask:0xf// 00000000D7E4: 0A4A4AFA FF015980
	v_mul_f32_dpp v38, v128, v38 row_newbcast:10 row_mask:0xf bank_mask:0xf// 00000000D7EC: 0A4C4CFA FF015A80
	v_mul_f32_dpp v39, v128, v39 row_newbcast:11 row_mask:0xf bank_mask:0xf// 00000000D7F4: 0A4E4EFA FF015B80
	v_pk_mul_f32 v[40:41], v[124:125], v[40:41]                // 00000000D7FC: D3B14028 1802517C
	v_pk_mul_f32 v[42:43], v[124:125], v[42:43]                // 00000000D804: D3B1402A 1802557C
	v_mul_f32_dpp v40, v128, v40 row_newbcast:12 row_mask:0xf bank_mask:0xf// 00000000D80C: 0A5050FA FF015C80
	v_mul_f32_dpp v41, v128, v41 row_newbcast:13 row_mask:0xf bank_mask:0xf// 00000000D814: 0A5252FA FF015D80
	v_mul_f32_dpp v42, v128, v42 row_newbcast:14 row_mask:0xf bank_mask:0xf// 00000000D81C: 0A5454FA FF015E80
	v_mul_f32_dpp v43, v128, v43 row_newbcast:15 row_mask:0xf bank_mask:0xf// 00000000D824: 0A5656FA FF015F80
	v_pk_mul_f32 v[44:45], v[126:127], v[44:45]                // 00000000D82C: D3B1402C 1802597E
	v_pk_mul_f32 v[46:47], v[126:127], v[46:47]                // 00000000D834: D3B1402E 18025D7E
	v_mul_f32_dpp v44, v128, v44 row_newbcast:0 row_mask:0xf bank_mask:0xf// 00000000D83C: 0A5858FA FF015080
	v_mul_f32_dpp v45, v128, v45 row_newbcast:1 row_mask:0xf bank_mask:0xf// 00000000D844: 0A5A5AFA FF015180
	v_mul_f32_dpp v46, v128, v46 row_newbcast:2 row_mask:0xf bank_mask:0xf// 00000000D84C: 0A5C5CFA FF015280
	v_mul_f32_dpp v47, v128, v47 row_newbcast:3 row_mask:0xf bank_mask:0xf// 00000000D854: 0A5E5EFA FF015380
	v_pk_mul_f32 v[48:49], v[126:127], v[48:49]                // 00000000D85C: D3B14030 1802617E
	v_pk_mul_f32 v[50:51], v[126:127], v[50:51]                // 00000000D864: D3B14032 1802657E
	v_mul_f32_dpp v48, v128, v48 row_newbcast:4 row_mask:0xf bank_mask:0xf// 00000000D86C: 0A6060FA FF015480
	v_mul_f32_dpp v49, v128, v49 row_newbcast:5 row_mask:0xf bank_mask:0xf// 00000000D874: 0A6262FA FF015580
	v_mul_f32_dpp v50, v128, v50 row_newbcast:6 row_mask:0xf bank_mask:0xf// 00000000D87C: 0A6464FA FF015680
	v_mul_f32_dpp v51, v128, v51 row_newbcast:7 row_mask:0xf bank_mask:0xf// 00000000D884: 0A6666FA FF015780
	v_pk_mul_f32 v[52:53], v[126:127], v[52:53]                // 00000000D88C: D3B14034 1802697E
	v_pk_mul_f32 v[54:55], v[126:127], v[54:55]                // 00000000D894: D3B14036 18026D7E
	v_mul_f32_dpp v52, v128, v52 row_newbcast:8 row_mask:0xf bank_mask:0xf// 00000000D89C: 0A6868FA FF015880
	v_mul_f32_dpp v53, v128, v53 row_newbcast:9 row_mask:0xf bank_mask:0xf// 00000000D8A4: 0A6A6AFA FF015980
	v_mul_f32_dpp v54, v128, v54 row_newbcast:10 row_mask:0xf bank_mask:0xf// 00000000D8AC: 0A6C6CFA FF015A80
	v_mul_f32_dpp v55, v128, v55 row_newbcast:11 row_mask:0xf bank_mask:0xf// 00000000D8B4: 0A6E6EFA FF015B80
	v_pk_mul_f32 v[56:57], v[126:127], v[56:57]                // 00000000D8BC: D3B14038 1802717E
	v_pk_mul_f32 v[58:59], v[126:127], v[58:59]                // 00000000D8C4: D3B1403A 1802757E
	v_mul_f32_dpp v56, v128, v56 row_newbcast:12 row_mask:0xf bank_mask:0xf// 00000000D8CC: 0A7070FA FF015C80
	v_mul_f32_dpp v57, v128, v57 row_newbcast:13 row_mask:0xf bank_mask:0xf// 00000000D8D4: 0A7272FA FF015D80
	v_mul_f32_dpp v58, v128, v58 row_newbcast:14 row_mask:0xf bank_mask:0xf// 00000000D8DC: 0A7474FA FF015E80
	v_mul_f32_dpp v59, v128, v59 row_newbcast:15 row_mask:0xf bank_mask:0xf// 00000000D8E4: 0A7676FA FF015F80
	v_add_u32_e32 v184, s49, v194                              // 00000000D8EC: 69718431
	v_add_u32_e32 v185, 0, v184                                // 00000000D8F0: 69737080
	v_cmp_lt_u32_e64 s[92:93], v185, v192                      // 00000000D8F4: D0C9005C 000381B9
	s_nop 0                                                    // 00000000D8FC: BF800000
	v_cndmask_b32_e64 v28, v195, v28, s[92:93]                 // 00000000D900: D100001C 017239C3
	v_add_u32_e32 v185, 1, v184                                // 00000000D908: 69737081
	v_cmp_lt_u32_e64 s[92:93], v185, v192                      // 00000000D90C: D0C9005C 000381B9
	s_nop 0                                                    // 00000000D914: BF800000
	v_cndmask_b32_e64 v29, v195, v29, s[92:93]                 // 00000000D918: D100001D 01723BC3
	v_add_u32_e32 v185, 2, v184                                // 00000000D920: 69737082
	v_cmp_lt_u32_e64 s[92:93], v185, v192                      // 00000000D924: D0C9005C 000381B9
	s_nop 0                                                    // 00000000D92C: BF800000
	v_cndmask_b32_e64 v30, v195, v30, s[92:93]                 // 00000000D930: D100001E 01723DC3
	v_add_u32_e32 v185, 3, v184                                // 00000000D938: 69737083
	v_cmp_lt_u32_e64 s[92:93], v185, v192                      // 00000000D93C: D0C9005C 000381B9
	s_nop 0                                                    // 00000000D944: BF800000
	v_cndmask_b32_e64 v31, v195, v31, s[92:93]                 // 00000000D948: D100001F 01723FC3
	v_add_u32_e32 v185, 64, v184                               // 00000000D950: 697370C0
	v_cmp_lt_u32_e64 s[92:93], v185, v192                      // 00000000D954: D0C9005C 000381B9
	s_nop 0                                                    // 00000000D95C: BF800000
	v_cndmask_b32_e64 v32, v195, v32, s[92:93]                 // 00000000D960: D1000020 017241C3
	v_add_u32_e32 v185, 0x41, v184                             // 00000000D968: 697370FF 00000041
	v_cmp_lt_u32_e64 s[92:93], v185, v192                      // 00000000D970: D0C9005C 000381B9
	s_nop 0                                                    // 00000000D978: BF800000
	v_cndmask_b32_e64 v33, v195, v33, s[92:93]                 // 00000000D97C: D1000021 017243C3
	v_add_u32_e32 v185, 0x42, v184                             // 00000000D984: 697370FF 00000042
	v_cmp_lt_u32_e64 s[92:93], v185, v192                      // 00000000D98C: D0C9005C 000381B9
	s_nop 0                                                    // 00000000D994: BF800000
	v_cndmask_b32_e64 v34, v195, v34, s[92:93]                 // 00000000D998: D1000022 017245C3
	v_add_u32_e32 v185, 0x43, v184                             // 00000000D9A0: 697370FF 00000043
	v_cmp_lt_u32_e64 s[92:93], v185, v192                      // 00000000D9A8: D0C9005C 000381B9
	s_nop 0                                                    // 00000000D9B0: BF800000
	v_cndmask_b32_e64 v35, v195, v35, s[92:93]                 // 00000000D9B4: D1000023 017247C3
	v_add_u32_e32 v185, 0x80, v184                             // 00000000D9BC: 697370FF 00000080
	v_cmp_lt_u32_e64 s[92:93], v185, v192                      // 00000000D9C4: D0C9005C 000381B9
	s_nop 0                                                    // 00000000D9CC: BF800000
	v_cndmask_b32_e64 v36, v195, v36, s[92:93]                 // 00000000D9D0: D1000024 017249C3
	v_add_u32_e32 v185, 0x81, v184                             // 00000000D9D8: 697370FF 00000081
	v_cmp_lt_u32_e64 s[92:93], v185, v192                      // 00000000D9E0: D0C9005C 000381B9
	s_nop 0                                                    // 00000000D9E8: BF800000
	v_cndmask_b32_e64 v37, v195, v37, s[92:93]                 // 00000000D9EC: D1000025 01724BC3
	v_add_u32_e32 v185, 0x82, v184                             // 00000000D9F4: 697370FF 00000082
	v_cmp_lt_u32_e64 s[92:93], v185, v192                      // 00000000D9FC: D0C9005C 000381B9
	s_nop 0                                                    // 00000000DA04: BF800000
	v_cndmask_b32_e64 v38, v195, v38, s[92:93]                 // 00000000DA08: D1000026 01724DC3
	v_add_u32_e32 v185, 0x83, v184                             // 00000000DA10: 697370FF 00000083
	v_cmp_lt_u32_e64 s[92:93], v185, v192                      // 00000000DA18: D0C9005C 000381B9
	s_nop 0                                                    // 00000000DA20: BF800000
	v_cndmask_b32_e64 v39, v195, v39, s[92:93]                 // 00000000DA24: D1000027 01724FC3
	v_add_u32_e32 v185, 0xc0, v184                             // 00000000DA2C: 697370FF 000000C0
	v_cmp_lt_u32_e64 s[92:93], v185, v192                      // 00000000DA34: D0C9005C 000381B9
	s_nop 0                                                    // 00000000DA3C: BF800000
	v_cndmask_b32_e64 v40, v195, v40, s[92:93]                 // 00000000DA40: D1000028 017251C3
	v_add_u32_e32 v185, 0xc1, v184                             // 00000000DA48: 697370FF 000000C1
	v_cmp_lt_u32_e64 s[92:93], v185, v192                      // 00000000DA50: D0C9005C 000381B9
	s_nop 0                                                    // 00000000DA58: BF800000
	v_cndmask_b32_e64 v41, v195, v41, s[92:93]                 // 00000000DA5C: D1000029 017253C3
	v_add_u32_e32 v185, 0xc2, v184                             // 00000000DA64: 697370FF 000000C2
	v_cmp_lt_u32_e64 s[92:93], v185, v192                      // 00000000DA6C: D0C9005C 000381B9
	s_nop 0                                                    // 00000000DA74: BF800000
	v_cndmask_b32_e64 v42, v195, v42, s[92:93]                 // 00000000DA78: D100002A 017255C3
	v_add_u32_e32 v185, 0xc3, v184                             // 00000000DA80: 697370FF 000000C3
	v_cmp_lt_u32_e64 s[92:93], v185, v192                      // 00000000DA88: D0C9005C 000381B9
	s_nop 0                                                    // 00000000DA90: BF800000
	v_cndmask_b32_e64 v43, v195, v43, s[92:93]                 // 00000000DA94: D100002B 017257C3
	v_add_u32_e32 v185, 0, v184                                // 00000000DA9C: 69737080
	v_cmp_lt_u32_e64 s[92:93], v185, v193                      // 00000000DAA0: D0C9005C 000383B9
	s_nop 0                                                    // 00000000DAA8: BF800000
	v_cndmask_b32_e64 v44, v195, v44, s[92:93]                 // 00000000DAAC: D100002C 017259C3
	v_add_u32_e32 v185, 1, v184                                // 00000000DAB4: 69737081
	v_cmp_lt_u32_e64 s[92:93], v185, v193                      // 00000000DAB8: D0C9005C 000383B9
	s_nop 0                                                    // 00000000DAC0: BF800000
	v_cndmask_b32_e64 v45, v195, v45, s[92:93]                 // 00000000DAC4: D100002D 01725BC3
	v_add_u32_e32 v185, 2, v184                                // 00000000DACC: 69737082
	v_cmp_lt_u32_e64 s[92:93], v185, v193                      // 00000000DAD0: D0C9005C 000383B9
	s_nop 0                                                    // 00000000DAD8: BF800000
	v_cndmask_b32_e64 v46, v195, v46, s[92:93]                 // 00000000DADC: D100002E 01725DC3
	v_add_u32_e32 v185, 3, v184                                // 00000000DAE4: 69737083
	v_cmp_lt_u32_e64 s[92:93], v185, v193                      // 00000000DAE8: D0C9005C 000383B9
	s_nop 0                                                    // 00000000DAF0: BF800000
	v_cndmask_b32_e64 v47, v195, v47, s[92:93]                 // 00000000DAF4: D100002F 01725FC3
	v_add_u32_e32 v185, 64, v184                               // 00000000DAFC: 697370C0
	v_cmp_lt_u32_e64 s[92:93], v185, v193                      // 00000000DB00: D0C9005C 000383B9
	s_nop 0                                                    // 00000000DB08: BF800000
	v_cndmask_b32_e64 v48, v195, v48, s[92:93]                 // 00000000DB0C: D1000030 017261C3
	v_add_u32_e32 v185, 0x41, v184                             // 00000000DB14: 697370FF 00000041
	v_cmp_lt_u32_e64 s[92:93], v185, v193                      // 00000000DB1C: D0C9005C 000383B9
	s_nop 0                                                    // 00000000DB24: BF800000
	v_cndmask_b32_e64 v49, v195, v49, s[92:93]                 // 00000000DB28: D1000031 017263C3
	v_add_u32_e32 v185, 0x42, v184                             // 00000000DB30: 697370FF 00000042
	v_cmp_lt_u32_e64 s[92:93], v185, v193                      // 00000000DB38: D0C9005C 000383B9
	s_nop 0                                                    // 00000000DB40: BF800000
	v_cndmask_b32_e64 v50, v195, v50, s[92:93]                 // 00000000DB44: D1000032 017265C3
	v_add_u32_e32 v185, 0x43, v184                             // 00000000DB4C: 697370FF 00000043
	v_cmp_lt_u32_e64 s[92:93], v185, v193                      // 00000000DB54: D0C9005C 000383B9
	s_nop 0                                                    // 00000000DB5C: BF800000
	v_cndmask_b32_e64 v51, v195, v51, s[92:93]                 // 00000000DB60: D1000033 017267C3
	v_add_u32_e32 v185, 0x80, v184                             // 00000000DB68: 697370FF 00000080
	v_cmp_lt_u32_e64 s[92:93], v185, v193                      // 00000000DB70: D0C9005C 000383B9
	s_nop 0                                                    // 00000000DB78: BF800000
	v_cndmask_b32_e64 v52, v195, v52, s[92:93]                 // 00000000DB7C: D1000034 017269C3
	v_add_u32_e32 v185, 0x81, v184                             // 00000000DB84: 697370FF 00000081
	v_cmp_lt_u32_e64 s[92:93], v185, v193                      // 00000000DB8C: D0C9005C 000383B9
	s_nop 0                                                    // 00000000DB94: BF800000
	v_cndmask_b32_e64 v53, v195, v53, s[92:93]                 // 00000000DB98: D1000035 01726BC3
	v_add_u32_e32 v185, 0x82, v184                             // 00000000DBA0: 697370FF 00000082
	v_cmp_lt_u32_e64 s[92:93], v185, v193                      // 00000000DBA8: D0C9005C 000383B9
	s_nop 0                                                    // 00000000DBB0: BF800000
	v_cndmask_b32_e64 v54, v195, v54, s[92:93]                 // 00000000DBB4: D1000036 01726DC3
	v_add_u32_e32 v185, 0x83, v184                             // 00000000DBBC: 697370FF 00000083
	v_cmp_lt_u32_e64 s[92:93], v185, v193                      // 00000000DBC4: D0C9005C 000383B9
	s_nop 0                                                    // 00000000DBCC: BF800000
	v_cndmask_b32_e64 v55, v195, v55, s[92:93]                 // 00000000DBD0: D1000037 01726FC3
	v_add_u32_e32 v185, 0xc0, v184                             // 00000000DBD8: 697370FF 000000C0
	v_cmp_lt_u32_e64 s[92:93], v185, v193                      // 00000000DBE0: D0C9005C 000383B9
	s_nop 0                                                    // 00000000DBE8: BF800000
	v_cndmask_b32_e64 v56, v195, v56, s[92:93]                 // 00000000DBEC: D1000038 017271C3
	v_add_u32_e32 v185, 0xc1, v184                             // 00000000DBF4: 697370FF 000000C1
	v_cmp_lt_u32_e64 s[92:93], v185, v193                      // 00000000DBFC: D0C9005C 000383B9
	s_nop 0                                                    // 00000000DC04: BF800000
	v_cndmask_b32_e64 v57, v195, v57, s[92:93]                 // 00000000DC08: D1000039 017273C3
	v_add_u32_e32 v185, 0xc2, v184                             // 00000000DC10: 697370FF 000000C2
	v_cmp_lt_u32_e64 s[92:93], v185, v193                      // 00000000DC18: D0C9005C 000383B9
	s_nop 0                                                    // 00000000DC20: BF800000
	v_cndmask_b32_e64 v58, v195, v58, s[92:93]                 // 00000000DC24: D100003A 017275C3
	v_add_u32_e32 v185, 0xc3, v184                             // 00000000DC2C: 697370FF 000000C3
	v_cmp_lt_u32_e64 s[92:93], v185, v193                      // 00000000DC34: D0C9005C 000383B9
	s_nop 0                                                    // 00000000DC3C: BF800000
	v_cndmask_b32_e64 v59, v195, v59, s[92:93]                 // 00000000DC40: D100003B 017277C3
	v_mov_b32_e32 v148, v28                                    // 00000000DC48: 7F28031C
	v_max3_f32 v148, v28, v29, v148                            // 00000000DC4C: D1D30094 06523B1C
	v_max3_f32 v148, v30, v31, v148                            // 00000000DC54: D1D30094 06523F1E
	v_max3_f32 v148, v32, v33, v148                            // 00000000DC5C: D1D30094 06524320
	v_max3_f32 v148, v34, v35, v148                            // 00000000DC64: D1D30094 06524722
	v_max3_f32 v148, v36, v37, v148                            // 00000000DC6C: D1D30094 06524B24
	v_max3_f32 v148, v38, v39, v148                            // 00000000DC74: D1D30094 06524F26
	v_max3_f32 v148, v40, v41, v148                            // 00000000DC7C: D1D30094 06525328
	v_max3_f32 v148, v42, v43, v148                            // 00000000DC84: D1D30094 0652572A
	v_mov_b32_e32 v149, v44                                    // 00000000DC8C: 7F2A032C
	v_max3_f32 v149, v44, v45, v149                            // 00000000DC90: D1D30095 06565B2C
	v_max3_f32 v149, v46, v47, v149                            // 00000000DC98: D1D30095 06565F2E
	v_max3_f32 v149, v48, v49, v149                            // 00000000DCA0: D1D30095 06566330
	v_max3_f32 v149, v50, v51, v149                            // 00000000DCA8: D1D30095 06566732
	v_max3_f32 v149, v52, v53, v149                            // 00000000DCB0: D1D30095 06566B34
	v_max3_f32 v149, v54, v55, v149                            // 00000000DCB8: D1D30095 06566F36
	v_max3_f32 v149, v56, v57, v149                            // 00000000DCC0: D1D30095 06567338
	v_max3_f32 v149, v58, v59, v149                            // 00000000DCC8: D1D30095 0656773A
	ds_write_b64 v214, v[148:149]                              // 00000000DCD0: D89A0000 000094D6
	v_pk_mul_f32 v[108:109], v[140:141], v[108:109]            // 00000000DCD8: D3B1406C 1802D98C
	v_pk_mul_f32 v[110:111], v[140:141], v[110:111]            // 00000000DCE0: D3B1406E 1802DD8C
	v_pk_mul_f32 v[112:113], v[140:141], v[112:113]            // 00000000DCE8: D3B14070 1802E18C
	v_pk_mul_f32 v[114:115], v[140:141], v[114:115]            // 00000000DCF0: D3B14072 1802E58C
	v_pk_mul_f32 v[116:117], v[142:143], v[116:117]            // 00000000DCF8: D3B14074 1802E98E
	v_pk_mul_f32 v[118:119], v[142:143], v[118:119]            // 00000000DD00: D3B14076 1802ED8E
	v_pk_mul_f32 v[120:121], v[142:143], v[120:121]            // 00000000DD08: D3B14078 1802F18E
	v_pk_mul_f32 v[122:123], v[142:143], v[122:123]            // 00000000DD10: D3B1407A 1802F58E
	s_waitcnt lgkmcnt(0)                                       // 00000000DD18: BF8CC07F
	s_barrier                                                  // 00000000DD1C: BF8A0000
	ds_read_b64 v[152:153], v215                               // 00000000DD20: D8EC0000 980000D7
	ds_read_b64 v[154:155], v215 offset:128                    // 00000000DD28: D8EC0080 9A0000D7
	ds_read_b64 v[156:157], v215 offset:256                    // 00000000DD30: D8EC0100 9C0000D7
	ds_read_b64 v[158:159], v215 offset:384                    // 00000000DD38: D8EC0180 9E0000D7
	ds_read_b64 v[160:161], v215 offset:512                    // 00000000DD40: D8EC0200 A00000D7
	ds_read_b64 v[162:163], v215 offset:640                    // 00000000DD48: D8EC0280 A20000D7
	ds_read_b64 v[164:165], v215 offset:768                    // 00000000DD50: D8EC0300 A40000D7
	ds_read_b64 v[166:167], v215 offset:896                    // 00000000DD58: D8EC0380 A60000D7
	ds_read_b64 v[168:169], v215 offset:1024                   // 00000000DD60: D8EC0400 A80000D7
	ds_read_b64 v[170:171], v215 offset:1152                   // 00000000DD68: D8EC0480 AA0000D7
	ds_read_b64 v[172:173], v215 offset:1280                   // 00000000DD70: D8EC0500 AC0000D7
	ds_read_b64 v[174:175], v215 offset:1408                   // 00000000DD78: D8EC0580 AE0000D7
	ds_read_b64 v[176:177], v215 offset:1536                   // 00000000DD80: D8EC0600 B00000D7
	ds_read_b64 v[178:179], v215 offset:1664                   // 00000000DD88: D8EC0680 B20000D7
	ds_read_b64 v[180:181], v215 offset:1792                   // 00000000DD90: D8EC0700 B40000D7
	ds_read_b64 v[182:183], v215 offset:1920                   // 00000000DD98: D8EC0780 B60000D7
	v_pk_mul_f32 v[92:93], v[132:133], v[92:93]                // 00000000DDA0: D3B1405C 1802B984
	v_pk_mul_f32 v[94:95], v[132:133], v[94:95]                // 00000000DDA8: D3B1405E 1802BD84
	v_pk_mul_f32 v[96:97], v[132:133], v[96:97]                // 00000000DDB0: D3B14060 1802C184
	v_pk_mul_f32 v[98:99], v[132:133], v[98:99]                // 00000000DDB8: D3B14062 1802C584
	v_pk_mul_f32 v[100:101], v[134:135], v[100:101]            // 00000000DDC0: D3B14064 1802C986
	v_pk_mul_f32 v[102:103], v[134:135], v[102:103]            // 00000000DDC8: D3B14066 1802CD86
	v_pk_mul_f32 v[104:105], v[134:135], v[104:105]            // 00000000DDD0: D3B14068 1802D186
	v_pk_mul_f32 v[106:107], v[134:135], v[106:107]            // 00000000DDD8: D3B1406A 1802D586
	s_waitcnt lgkmcnt(0)                                       // 00000000DDE0: BF8CC07F
	v_max3_f32 v148, v152, v154, v148                          // 00000000DDE4: D1D30094 06533598
	v_max3_f32 v149, v153, v155, v149                          // 00000000DDEC: D1D30095 06573799
	v_max3_f32 v148, v156, v158, v148                          // 00000000DDF4: D1D30094 06533D9C
	v_max3_f32 v149, v157, v159, v149                          // 00000000DDFC: D1D30095 06573F9D
	v_max3_f32 v148, v160, v162, v148                          // 00000000DE04: D1D30094 065345A0
	v_max3_f32 v149, v161, v163, v149                          // 00000000DE0C: D1D30095 065747A1
	v_max3_f32 v148, v164, v166, v148                          // 00000000DE14: D1D30094 06534DA4
	v_max3_f32 v149, v165, v167, v149                          // 00000000DE1C: D1D30095 06574FA5
	v_max3_f32 v148, v168, v170, v148                          // 00000000DE24: D1D30094 065355A8
	v_max3_f32 v149, v169, v171, v149                          // 00000000DE2C: D1D30095 065757A9
	v_max3_f32 v148, v172, v174, v148                          // 00000000DE34: D1D30094 06535DAC
	v_max3_f32 v149, v173, v175, v149                          // 00000000DE3C: D1D30095 06575FAD
	v_max3_f32 v148, v176, v178, v148                          // 00000000DE44: D1D30094 065365B0
	v_max3_f32 v149, v177, v179, v149                          // 00000000DE4C: D1D30095 065767B1
	v_max3_f32 v148, v180, v182, v148                          // 00000000DE54: D1D30094 06536DB4
	v_max3_f32 v149, v181, v183, v149                          // 00000000DE5C: D1D30095 06576FB5
	v_max_f32_e32 v138, v148, v136                             // 00000000DE64: 17151194
	v_mul_f32_e64 v184, -s51, v138                             // 00000000DE68: D10500B8 20031433
	v_mov_b32_e32 v185, v184                                   // 00000000DE70: 7F7203B8
	v_pk_fma_f32 v[28:29], v[28:29], s[68:69], v[184:185]      // 00000000DE74: D3B0401C 1EE0891C
	v_pk_fma_f32 v[30:31], v[30:31], s[68:69], v[184:185]      // 00000000DE7C: D3B0401E 1EE0891E
	v_exp_f32_e32 v28, v28                                     // 00000000DE84: 7E38411C
	v_exp_f32_e32 v29, v29                                     // 00000000DE88: 7E3A411D
	v_exp_f32_e32 v30, v30                                     // 00000000DE8C: 7E3C411E
	v_exp_f32_e32 v31, v31                                     // 00000000DE90: 7E3E411F
	v_pk_fma_f32 v[32:33], v[32:33], s[68:69], v[184:185]      // 00000000DE94: D3B04020 1EE08920
	v_pk_fma_f32 v[34:35], v[34:35], s[68:69], v[184:185]      // 00000000DE9C: D3B04022 1EE08922
	v_exp_f32_e32 v32, v32                                     // 00000000DEA4: 7E404120
	v_exp_f32_e32 v33, v33                                     // 00000000DEA8: 7E424121
	v_exp_f32_e32 v34, v34                                     // 00000000DEAC: 7E444122
	v_exp_f32_e32 v35, v35                                     // 00000000DEB0: 7E464123
	v_pk_fma_f32 v[36:37], v[36:37], s[68:69], v[184:185]      // 00000000DEB4: D3B04024 1EE08924
	v_pk_fma_f32 v[38:39], v[38:39], s[68:69], v[184:185]      // 00000000DEBC: D3B04026 1EE08926
	v_exp_f32_e32 v36, v36                                     // 00000000DEC4: 7E484124
	v_exp_f32_e32 v37, v37                                     // 00000000DEC8: 7E4A4125
	v_exp_f32_e32 v38, v38                                     // 00000000DECC: 7E4C4126
	v_exp_f32_e32 v39, v39                                     // 00000000DED0: 7E4E4127
	v_pk_fma_f32 v[40:41], v[40:41], s[68:69], v[184:185]      // 00000000DED4: D3B04028 1EE08928
	v_pk_fma_f32 v[42:43], v[42:43], s[68:69], v[184:185]      // 00000000DEDC: D3B0402A 1EE0892A
	v_exp_f32_e32 v40, v40                                     // 00000000DEE4: 7E504128
	v_exp_f32_e32 v41, v41                                     // 00000000DEE8: 7E524129
	v_exp_f32_e32 v42, v42                                     // 00000000DEEC: 7E54412A
	v_exp_f32_e32 v43, v43                                     // 00000000DEF0: 7E56412B
	v_max_f32_e32 v139, v149, v137                             // 00000000DEF4: 17171395
	v_mul_f32_e64 v184, -s51, v139                             // 00000000DEF8: D10500B8 20031633
	v_mov_b32_e32 v185, v184                                   // 00000000DF00: 7F7203B8
	v_pk_fma_f32 v[44:45], v[44:45], s[68:69], v[184:185]      // 00000000DF04: D3B0402C 1EE0892C
	v_pk_fma_f32 v[46:47], v[46:47], s[68:69], v[184:185]      // 00000000DF0C: D3B0402E 1EE0892E
	v_exp_f32_e32 v44, v44                                     // 00000000DF14: 7E58412C
	v_exp_f32_e32 v45, v45                                     // 00000000DF18: 7E5A412D
	v_exp_f32_e32 v46, v46                                     // 00000000DF1C: 7E5C412E
	v_exp_f32_e32 v47, v47                                     // 00000000DF20: 7E5E412F
	v_pk_fma_f32 v[48:49], v[48:49], s[68:69], v[184:185]      // 00000000DF24: D3B04030 1EE08930
	v_pk_fma_f32 v[50:51], v[50:51], s[68:69], v[184:185]      // 00000000DF2C: D3B04032 1EE08932
	v_exp_f32_e32 v48, v48                                     // 00000000DF34: 7E604130
	v_exp_f32_e32 v49, v49                                     // 00000000DF38: 7E624131
	v_exp_f32_e32 v50, v50                                     // 00000000DF3C: 7E644132
	v_exp_f32_e32 v51, v51                                     // 00000000DF40: 7E664133
	v_pk_fma_f32 v[52:53], v[52:53], s[68:69], v[184:185]      // 00000000DF44: D3B04034 1EE08934
	v_pk_fma_f32 v[54:55], v[54:55], s[68:69], v[184:185]      // 00000000DF4C: D3B04036 1EE08936
	v_exp_f32_e32 v52, v52                                     // 00000000DF54: 7E684134
	v_exp_f32_e32 v53, v53                                     // 00000000DF58: 7E6A4135
	v_exp_f32_e32 v54, v54                                     // 00000000DF5C: 7E6C4136
	v_exp_f32_e32 v55, v55                                     // 00000000DF60: 7E6E4137
	v_pk_fma_f32 v[56:57], v[56:57], s[68:69], v[184:185]      // 00000000DF64: D3B04038 1EE08938
	v_pk_fma_f32 v[58:59], v[58:59], s[68:69], v[184:185]      // 00000000DF6C: D3B0403A 1EE0893A
	v_exp_f32_e32 v56, v56                                     // 00000000DF74: 7E704138
	v_exp_f32_e32 v57, v57                                     // 00000000DF78: 7E724139
	v_exp_f32_e32 v58, v58                                     // 00000000DF7C: 7E74413A
	v_exp_f32_e32 v59, v59                                     // 00000000DF80: 7E76413B
	v_mul_f32_dpp v60, v130, v28 row_newbcast:0 row_mask:0xf bank_mask:0xf// 00000000DF84: 0A7838FA FF015082
	v_mul_f32_dpp v61, v130, v29 row_newbcast:1 row_mask:0xf bank_mask:0xf// 00000000DF8C: 0A7A3AFA FF015182
	v_mul_f32_dpp v62, v130, v30 row_newbcast:2 row_mask:0xf bank_mask:0xf// 00000000DF94: 0A7C3CFA FF015282
	v_mul_f32_dpp v63, v130, v31 row_newbcast:3 row_mask:0xf bank_mask:0xf// 00000000DF9C: 0A7E3EFA FF015382
	v_mul_f32_dpp v64, v130, v32 row_newbcast:4 row_mask:0xf bank_mask:0xf// 00000000DFA4: 0A8040FA FF015482
	v_mul_f32_dpp v65, v130, v33 row_newbcast:5 row_mask:0xf bank_mask:0xf// 00000000DFAC: 0A8242FA FF015582
	v_mul_f32_dpp v66, v130, v34 row_newbcast:6 row_mask:0xf bank_mask:0xf// 00000000DFB4: 0A8444FA FF015682
	v_mul_f32_dpp v67, v130, v35 row_newbcast:7 row_mask:0xf bank_mask:0xf// 00000000DFBC: 0A8646FA FF015782
	v_mul_f32_dpp v68, v130, v36 row_newbcast:8 row_mask:0xf bank_mask:0xf// 00000000DFC4: 0A8848FA FF015882
	v_mul_f32_dpp v69, v130, v37 row_newbcast:9 row_mask:0xf bank_mask:0xf// 00000000DFCC: 0A8A4AFA FF015982
	v_mul_f32_dpp v70, v130, v38 row_newbcast:10 row_mask:0xf bank_mask:0xf// 00000000DFD4: 0A8C4CFA FF015A82
	v_mul_f32_dpp v71, v130, v39 row_newbcast:11 row_mask:0xf bank_mask:0xf// 00000000DFDC: 0A8E4EFA FF015B82
	v_mul_f32_dpp v72, v130, v40 row_newbcast:12 row_mask:0xf bank_mask:0xf// 00000000DFE4: 0A9050FA FF015C82
	v_mul_f32_dpp v73, v130, v41 row_newbcast:13 row_mask:0xf bank_mask:0xf// 00000000DFEC: 0A9252FA FF015D82
	v_mul_f32_dpp v74, v130, v42 row_newbcast:14 row_mask:0xf bank_mask:0xf// 00000000DFF4: 0A9454FA FF015E82
	v_mul_f32_dpp v75, v130, v43 row_newbcast:15 row_mask:0xf bank_mask:0xf// 00000000DFFC: 0A9656FA FF015F82
	v_mul_f32_dpp v76, v130, v44 row_newbcast:0 row_mask:0xf bank_mask:0xf// 00000000E004: 0A9858FA FF015082
	v_mul_f32_dpp v77, v130, v45 row_newbcast:1 row_mask:0xf bank_mask:0xf// 00000000E00C: 0A9A5AFA FF015182
	v_mul_f32_dpp v78, v130, v46 row_newbcast:2 row_mask:0xf bank_mask:0xf// 00000000E014: 0A9C5CFA FF015282
	v_mul_f32_dpp v79, v130, v47 row_newbcast:3 row_mask:0xf bank_mask:0xf// 00000000E01C: 0A9E5EFA FF015382
	v_mul_f32_dpp v80, v130, v48 row_newbcast:4 row_mask:0xf bank_mask:0xf// 00000000E024: 0AA060FA FF015482
	v_mul_f32_dpp v81, v130, v49 row_newbcast:5 row_mask:0xf bank_mask:0xf// 00000000E02C: 0AA262FA FF015582
	v_mul_f32_dpp v82, v130, v50 row_newbcast:6 row_mask:0xf bank_mask:0xf// 00000000E034: 0AA464FA FF015682
	v_mul_f32_dpp v83, v130, v51 row_newbcast:7 row_mask:0xf bank_mask:0xf// 00000000E03C: 0AA666FA FF015782
	v_mul_f32_dpp v84, v130, v52 row_newbcast:8 row_mask:0xf bank_mask:0xf// 00000000E044: 0AA868FA FF015882
	v_mul_f32_dpp v85, v130, v53 row_newbcast:9 row_mask:0xf bank_mask:0xf// 00000000E04C: 0AAA6AFA FF015982
	v_mul_f32_dpp v86, v130, v54 row_newbcast:10 row_mask:0xf bank_mask:0xf// 00000000E054: 0AAC6CFA FF015A82
	v_mul_f32_dpp v87, v130, v55 row_newbcast:11 row_mask:0xf bank_mask:0xf// 00000000E05C: 0AAE6EFA FF015B82
	v_mul_f32_dpp v88, v130, v56 row_newbcast:12 row_mask:0xf bank_mask:0xf// 00000000E064: 0AB070FA FF015C82
	v_mul_f32_dpp v89, v130, v57 row_newbcast:13 row_mask:0xf bank_mask:0xf// 00000000E06C: 0AB272FA FF015D82
	v_mul_f32_dpp v90, v130, v58 row_newbcast:14 row_mask:0xf bank_mask:0xf// 00000000E074: 0AB474FA FF015E82
	v_mul_f32_dpp v91, v130, v59 row_newbcast:15 row_mask:0xf bank_mask:0xf// 00000000E07C: 0AB676FA FF015F82
	v_mov_b32_e32 v148, 0x358637bd                             // 00000000E084: 7F2802FF 358637BD
	v_max3_f32 v148, |v60|, |v61|, v148                        // 00000000E08C: D1D30394 06527B3C
	v_max3_f32 v148, |v62|, |v63|, v148                        // 00000000E094: D1D30394 06527F3E
	v_max3_f32 v148, |v64|, |v65|, v148                        // 00000000E09C: D1D30394 06528340
	v_max3_f32 v148, |v66|, |v67|, v148                        // 00000000E0A4: D1D30394 06528742
	v_max3_f32 v148, |v68|, |v69|, v148                        // 00000000E0AC: D1D30394 06528B44
	v_max3_f32 v148, |v70|, |v71|, v148                        // 00000000E0B4: D1D30394 06528F46
	v_max3_f32 v148, |v72|, |v73|, v148                        // 00000000E0BC: D1D30394 06529348
	v_max3_f32 v148, |v74|, |v75|, v148                        // 00000000E0C4: D1D30394 0652974A
	v_mov_b32_e32 v149, 0x358637bd                             // 00000000E0CC: 7F2A02FF 358637BD
	v_max3_f32 v149, |v76|, |v77|, v149                        // 00000000E0D4: D1D30395 06569B4C
	v_max3_f32 v149, |v78|, |v79|, v149                        // 00000000E0DC: D1D30395 06569F4E
	v_max3_f32 v149, |v80|, |v81|, v149                        // 00000000E0E4: D1D30395 0656A350
	v_max3_f32 v149, |v82|, |v83|, v149                        // 00000000E0EC: D1D30395 0656A752
	v_max3_f32 v149, |v84|, |v85|, v149                        // 00000000E0F4: D1D30395 0656AB54
	v_max3_f32 v149, |v86|, |v87|, v149                        // 00000000E0FC: D1D30395 0656AF56
	v_max3_f32 v149, |v88|, |v89|, v149                        // 00000000E104: D1D30395 0656B358
	v_max3_f32 v149, |v90|, |v91|, v149                        // 00000000E10C: D1D30395 0656B75A
	ds_write_b64 v214, v[148:149] offset:2304                  // 00000000E114: D89A0900 000094D6
	v_sub_f32_e32 v140, v136, v138                             // 00000000E11C: 05191588
	v_cmp_eq_u32_e64 s[92:93], v195, v136                      // 00000000E120: D0CA005C 000311C3
	s_nop 0                                                    // 00000000E128: BF800000
	v_cndmask_b32_e64 v140, v140, 0, s[92:93]                  // 00000000E12C: D100008C 0171018C
	v_mov_b32_e32 v136, v138                                   // 00000000E134: 7F10038A
	v_mul_f32_e32 v140, s51, v140                              // 00000000E138: 0B191833
	v_exp_f32_e32 v140, v140                                   // 00000000E13C: 7F18418C
	v_sub_f32_e32 v142, v137, v139                             // 00000000E140: 051D1789
	v_cmp_eq_u32_e64 s[92:93], v195, v137                      // 00000000E144: D0CA005C 000313C3
	s_nop 0                                                    // 00000000E14C: BF800000
	v_cndmask_b32_e64 v142, v142, 0, s[92:93]                  // 00000000E150: D100008E 0171018E
	v_mov_b32_e32 v137, v139                                   // 00000000E158: 7F12038B
	v_mul_f32_e32 v142, s51, v142                              // 00000000E15C: 0B1D1C33
	v_exp_f32_e32 v142, v142                                   // 00000000E160: 7F1C418E
	v_mov_b32_e32 v141, v140                                   // 00000000E164: 7F1A038C
	v_mov_b32_e32 v143, v142                                   // 00000000E168: 7F1E038E
	s_waitcnt lgkmcnt(0)                                       // 00000000E16C: BF8CC07F
	s_barrier                                                  // 00000000E170: BF8A0000
	ds_read_b64 v[152:153], v215 offset:2304                   // 00000000E174: D8EC0900 980000D7
	ds_read_b64 v[154:155], v215 offset:2432                   // 00000000E17C: D8EC0980 9A0000D7
	ds_read_b64 v[156:157], v215 offset:2560                   // 00000000E184: D8EC0A00 9C0000D7
	ds_read_b64 v[158:159], v215 offset:2688                   // 00000000E18C: D8EC0A80 9E0000D7
	ds_read_b64 v[160:161], v215 offset:2816                   // 00000000E194: D8EC0B00 A00000D7
	ds_read_b64 v[162:163], v215 offset:2944                   // 00000000E19C: D8EC0B80 A20000D7
	ds_read_b64 v[164:165], v215 offset:3072                   // 00000000E1A4: D8EC0C00 A40000D7
	ds_read_b64 v[166:167], v215 offset:3200                   // 00000000E1AC: D8EC0C80 A60000D7
	ds_read_b64 v[168:169], v215 offset:3328                   // 00000000E1B4: D8EC0D00 A80000D7
	ds_read_b64 v[170:171], v215 offset:3456                   // 00000000E1BC: D8EC0D80 AA0000D7
	ds_read_b64 v[172:173], v215 offset:3584                   // 00000000E1C4: D8EC0E00 AC0000D7
	ds_read_b64 v[174:175], v215 offset:3712                   // 00000000E1CC: D8EC0E80 AE0000D7
	ds_read_b64 v[176:177], v215 offset:3840                   // 00000000E1D4: D8EC0F00 B00000D7
	ds_read_b64 v[178:179], v215 offset:3968                   // 00000000E1DC: D8EC0F80 B20000D7
	ds_read_b64 v[180:181], v215 offset:4096                   // 00000000E1E4: D8EC1000 B40000D7
	ds_read_b64 v[182:183], v215 offset:4224                   // 00000000E1EC: D8EC1080 B60000D7
	v_mul_f32_e32 v144, v140, v144                             // 00000000E1F4: 0B21218C
	v_add_f32_e32 v144, v28, v144                              // 00000000E1F8: 0321211C
	v_add_f32_e32 v144, v29, v144                              // 00000000E1FC: 0321211D
	v_add_f32_e32 v144, v30, v144                              // 00000000E200: 0321211E
	v_add_f32_e32 v144, v31, v144                              // 00000000E204: 0321211F
	v_add_f32_e32 v144, v32, v144                              // 00000000E208: 03212120
	v_add_f32_e32 v144, v33, v144                              // 00000000E20C: 03212121
	v_add_f32_e32 v144, v34, v144                              // 00000000E210: 03212122
	v_add_f32_e32 v144, v35, v144                              // 00000000E214: 03212123
	v_add_f32_e32 v144, v36, v144                              // 00000000E218: 03212124
	v_add_f32_e32 v144, v37, v144                              // 00000000E21C: 03212125
	v_add_f32_e32 v144, v38, v144                              // 00000000E220: 03212126
	v_add_f32_e32 v144, v39, v144                              // 00000000E224: 03212127
	v_add_f32_e32 v144, v40, v144                              // 00000000E228: 03212128
	v_add_f32_e32 v144, v41, v144                              // 00000000E22C: 03212129
	v_add_f32_e32 v144, v42, v144                              // 00000000E230: 0321212A
	v_add_f32_e32 v144, v43, v144                              // 00000000E234: 0321212B
	v_mul_f32_e32 v145, v142, v145                             // 00000000E238: 0B23238E
	v_add_f32_e32 v145, v44, v145                              // 00000000E23C: 0323232C
	v_add_f32_e32 v145, v45, v145                              // 00000000E240: 0323232D
	v_add_f32_e32 v145, v46, v145                              // 00000000E244: 0323232E
	v_add_f32_e32 v145, v47, v145                              // 00000000E248: 0323232F
	v_add_f32_e32 v145, v48, v145                              // 00000000E24C: 03232330
	v_add_f32_e32 v145, v49, v145                              // 00000000E250: 03232331
	v_add_f32_e32 v145, v50, v145                              // 00000000E254: 03232332
	v_add_f32_e32 v145, v51, v145                              // 00000000E258: 03232333
	v_add_f32_e32 v145, v52, v145                              // 00000000E25C: 03232334
	v_add_f32_e32 v145, v53, v145                              // 00000000E260: 03232335
	v_add_f32_e32 v145, v54, v145                              // 00000000E264: 03232336
	v_add_f32_e32 v145, v55, v145                              // 00000000E268: 03232337
	v_add_f32_e32 v145, v56, v145                              // 00000000E26C: 03232338
	v_add_f32_e32 v145, v57, v145                              // 00000000E270: 03232339
	v_add_f32_e32 v145, v58, v145                              // 00000000E274: 0323233A
	v_add_f32_e32 v145, v59, v145                              // 00000000E278: 0323233B
	s_waitcnt lgkmcnt(0)                                       // 00000000E27C: BF8CC07F
	v_max3_f32 v148, v152, v154, v148                          // 00000000E280: D1D30094 06533598
	v_max3_f32 v149, v153, v155, v149                          // 00000000E288: D1D30095 06573799
	v_max3_f32 v148, v156, v158, v148                          // 00000000E290: D1D30094 06533D9C
	v_max3_f32 v149, v157, v159, v149                          // 00000000E298: D1D30095 06573F9D
	v_max3_f32 v148, v160, v162, v148                          // 00000000E2A0: D1D30094 065345A0
	v_max3_f32 v149, v161, v163, v149                          // 00000000E2A8: D1D30095 065747A1
	v_max3_f32 v148, v164, v166, v148                          // 00000000E2B0: D1D30094 06534DA4
	v_max3_f32 v149, v165, v167, v149                          // 00000000E2B8: D1D30095 06574FA5
	v_max3_f32 v148, v168, v170, v148                          // 00000000E2C0: D1D30094 065355A8
	v_max3_f32 v149, v169, v171, v149                          // 00000000E2C8: D1D30095 065757A9
	v_max3_f32 v148, v172, v174, v148                          // 00000000E2D0: D1D30094 06535DAC
	v_max3_f32 v149, v173, v175, v149                          // 00000000E2D8: D1D30095 06575FAD
	v_max3_f32 v148, v176, v178, v148                          // 00000000E2E0: D1D30094 065365B0
	v_max3_f32 v149, v177, v179, v149                          // 00000000E2E8: D1D30095 065767B1
	v_max3_f32 v148, v180, v182, v148                          // 00000000E2F0: D1D30094 06536DB4
	v_max3_f32 v149, v181, v183, v149                          // 00000000E2F8: D1D30095 06576FB5
	v_rcp_f32_e32 v148, v148                                   // 00000000E300: 7F284594
	v_rcp_f32_e32 v149, v149                                   // 00000000E304: 7F2A4595
	v_mul_f32_e32 v148, 0x43700000, v148                       // 00000000E308: 0B2928FF 43700000
	v_mul_f32_e32 v149, 0x43700000, v149                       // 00000000E310: 0B2B2AFF 43700000
	v_mov_b32_e32 v150, v149                                   // 00000000E318: 7F2C0395
	v_mov_b32_e32 v151, v149                                   // 00000000E31C: 7F2E0395
	v_mov_b32_e32 v149, v148                                   // 00000000E320: 7F2A0394
	v_pk_mul_f32 v[28:29], v[148:149], v[60:61]                // 00000000E324: D3B1401C 18027994
	v_pk_mul_f32 v[30:31], v[148:149], v[62:63]                // 00000000E32C: D3B1401E 18027D94
	v_pk_mul_f32 v[32:33], v[148:149], v[64:65]                // 00000000E334: D3B14020 18028194
	v_pk_mul_f32 v[34:35], v[148:149], v[66:67]                // 00000000E33C: D3B14022 18028594
	v_pk_mul_f32 v[36:37], v[148:149], v[68:69]                // 00000000E344: D3B14024 18028994
	v_pk_mul_f32 v[38:39], v[148:149], v[70:71]                // 00000000E34C: D3B14026 18028D94
	v_pk_mul_f32 v[40:41], v[148:149], v[72:73]                // 00000000E354: D3B14028 18029194
	v_pk_mul_f32 v[42:43], v[148:149], v[74:75]                // 00000000E35C: D3B1402A 18029594
	v_pk_mul_f32 v[44:45], v[150:151], v[76:77]                // 00000000E364: D3B1402C 18029996
	v_pk_mul_f32 v[46:47], v[150:151], v[78:79]                // 00000000E36C: D3B1402E 18029D96
	v_pk_mul_f32 v[48:49], v[150:151], v[80:81]                // 00000000E374: D3B14030 1802A196
	v_pk_mul_f32 v[50:51], v[150:151], v[82:83]                // 00000000E37C: D3B14032 1802A596
	v_pk_mul_f32 v[52:53], v[150:151], v[84:85]                // 00000000E384: D3B14034 1802A996
	v_pk_mul_f32 v[54:55], v[150:151], v[86:87]                // 00000000E38C: D3B14036 1802AD96
	v_pk_mul_f32 v[56:57], v[150:151], v[88:89]                // 00000000E394: D3B14038 1802B196
	v_pk_mul_f32 v[58:59], v[150:151], v[90:91]                // 00000000E39C: D3B1403A 1802B596
	v_cvt_pk_fp8_f32 v28, v28, v29                             // 00000000E3A4: D2A2001C 00023B1C
	v_cvt_pk_fp8_f32 v28, v30, v31 op_sel:[0,0,1]              // 00000000E3AC: D2A2401C 00023F1E
	v_cvt_pk_fp8_f32 v29, v32, v33                             // 00000000E3B4: D2A2001D 00024320
	v_cvt_pk_fp8_f32 v29, v34, v35 op_sel:[0,0,1]              // 00000000E3BC: D2A2401D 00024722
	v_cvt_pk_fp8_f32 v30, v36, v37                             // 00000000E3C4: D2A2001E 00024B24
	v_cvt_pk_fp8_f32 v30, v38, v39 op_sel:[0,0,1]              // 00000000E3CC: D2A2401E 00024F26
	v_cvt_pk_fp8_f32 v31, v40, v41                             // 00000000E3D4: D2A2001F 00025328
	v_cvt_pk_fp8_f32 v31, v42, v43 op_sel:[0,0,1]              // 00000000E3DC: D2A2401F 0002572A
	v_cvt_pk_fp8_f32 v32, v44, v45                             // 00000000E3E4: D2A20020 00025B2C
	v_cvt_pk_fp8_f32 v32, v46, v47 op_sel:[0,0,1]              // 00000000E3EC: D2A24020 00025F2E
	v_cvt_pk_fp8_f32 v33, v48, v49                             // 00000000E3F4: D2A20021 00026330
	v_cvt_pk_fp8_f32 v33, v50, v51 op_sel:[0,0,1]              // 00000000E3FC: D2A24021 00026732
	v_cvt_pk_fp8_f32 v34, v52, v53                             // 00000000E404: D2A20022 00026B34
	v_cvt_pk_fp8_f32 v34, v54, v55 op_sel:[0,0,1]              // 00000000E40C: D2A24022 00026F36
	v_cvt_pk_fp8_f32 v35, v56, v57                             // 00000000E414: D2A20023 00027338
	v_cvt_pk_fp8_f32 v35, v58, v59 op_sel:[0,0,1]              // 00000000E41C: D2A24023 0002773A
	ds_write_b32 v216, v28 offset:4608                         // 00000000E424: D81A1200 00001CD8
	ds_write_b32 v216, v29 offset:5632                         // 00000000E42C: D81A1600 00001DD8
	ds_write_b32 v216, v30 offset:6656                         // 00000000E434: D81A1A00 00001ED8
	ds_write_b32 v216, v31 offset:7680                         // 00000000E43C: D81A1E00 00001FD8
	ds_write_b32 v216, v32 offset:8704                         // 00000000E444: D81A2200 000020D8
	ds_write_b32 v216, v33 offset:9728                         // 00000000E44C: D81A2600 000021D8
	ds_write_b32 v216, v34 offset:10752                        // 00000000E454: D81A2A00 000022D8
	ds_write_b32 v216, v35 offset:11776                        // 00000000E45C: D81A2E00 000023D8
	v_rcp_f32_e32 v132, v148                                   // 00000000E464: 7F084594
	v_rcp_f32_e32 v134, v150                                   // 00000000E468: 7F0C4596
	v_mov_b32_e32 v133, v132                                   // 00000000E46C: 7F0A0384
	v_mov_b32_e32 v135, v134                                   // 00000000E470: 7F0E0386
	v_pk_add_f32 v[108:109], v[108:109], v[92:93]              // 00000000E474: D3B2406C 1802B96C
	v_pk_add_f32 v[110:111], v[110:111], v[94:95]              // 00000000E47C: D3B2406E 1802BD6E
	v_pk_add_f32 v[112:113], v[112:113], v[96:97]              // 00000000E484: D3B24070 1802C170
	v_pk_add_f32 v[114:115], v[114:115], v[98:99]              // 00000000E48C: D3B24072 1802C572
	v_pk_add_f32 v[116:117], v[116:117], v[100:101]            // 00000000E494: D3B24074 1802C974
	v_pk_add_f32 v[118:119], v[118:119], v[102:103]            // 00000000E49C: D3B24076 1802CD76
	v_pk_add_f32 v[120:121], v[120:121], v[104:105]            // 00000000E4A4: D3B24078 1802D178
	v_pk_add_f32 v[122:123], v[122:123], v[106:107]            // 00000000E4AC: D3B2407A 1802D57A
	s_waitcnt lgkmcnt(0)                                       // 00000000E4B4: BF8CC07F
	s_barrier                                                  // 00000000E4B8: BF8A0000
	ds_read_b128 v[28:31], v217 offset:4608                    // 00000000E4BC: D9FE1200 1C0000D9
	ds_read_b128 v[32:35], v217 offset:5632                    // 00000000E4C4: D9FE1600 200000D9
	ds_read_b128 v[36:39], v217 offset:6656                    // 00000000E4CC: D9FE1A00 240000D9
	ds_read_b128 v[40:43], v217 offset:7680                    // 00000000E4D4: D9FE1E00 280000D9
	ds_read_b128 v[44:47], v217 offset:8704                    // 00000000E4DC: D9FE2200 2C0000D9
	ds_read_b128 v[48:51], v217 offset:9728                    // 00000000E4E4: D9FE2600 300000D9
	ds_read_b128 v[52:55], v217 offset:10752                   // 00000000E4EC: D9FE2A00 340000D9
	ds_read_b128 v[56:59], v217 offset:11776                   // 00000000E4F4: D9FE2E00 380000D9
	s_waitcnt vmcnt(0)                                         // 00000000E4FC: BF8C0F70
	s_waitcnt lgkmcnt(7)                                       // 00000000E500: BF8CC77F
	v_mfma_f32_16x16x32_fp8_fp8 v[92:95], a[64:65], v[28:29], 0// 00000000E504: D3F3005C 0A023940
	v_mfma_f32_16x16x32_fp8_fp8 v[96:99], a[80:81], v[28:29], 0// 00000000E50C: D3F30060 0A023950
	v_mfma_f32_16x16x32_fp8_fp8 v[92:95], a[66:67], v[30:31], v[92:95]// 00000000E514: D3F3005C 0D723D42
	v_mfma_f32_16x16x32_fp8_fp8 v[96:99], a[82:83], v[30:31], v[96:99]// 00000000E51C: D3F30060 0D823D52
	s_waitcnt lgkmcnt(6)                                       // 00000000E524: BF8CC67F
	v_mfma_f32_16x16x32_fp8_fp8 v[92:95], a[68:69], v[32:33], v[92:95]// 00000000E528: D3F3005C 0D724144
	v_mfma_f32_16x16x32_fp8_fp8 v[96:99], a[84:85], v[32:33], v[96:99]// 00000000E530: D3F30060 0D824154
	v_mfma_f32_16x16x32_fp8_fp8 v[92:95], a[70:71], v[34:35], v[92:95]// 00000000E538: D3F3005C 0D724546
	v_mfma_f32_16x16x32_fp8_fp8 v[96:99], a[86:87], v[34:35], v[96:99]// 00000000E540: D3F30060 0D824556
	s_waitcnt lgkmcnt(5)                                       // 00000000E548: BF8CC57F
	v_mfma_f32_16x16x32_fp8_fp8 v[92:95], a[72:73], v[36:37], v[92:95]// 00000000E54C: D3F3005C 0D724948
	v_mfma_f32_16x16x32_fp8_fp8 v[96:99], a[88:89], v[36:37], v[96:99]// 00000000E554: D3F30060 0D824958
	v_mfma_f32_16x16x32_fp8_fp8 v[92:95], a[74:75], v[38:39], v[92:95]// 00000000E55C: D3F3005C 0D724D4A
	v_mfma_f32_16x16x32_fp8_fp8 v[96:99], a[90:91], v[38:39], v[96:99]// 00000000E564: D3F30060 0D824D5A
	s_waitcnt lgkmcnt(4)                                       // 00000000E56C: BF8CC47F
	v_mfma_f32_16x16x32_fp8_fp8 v[92:95], a[76:77], v[40:41], v[92:95]// 00000000E570: D3F3005C 0D72514C
	v_mfma_f32_16x16x32_fp8_fp8 v[96:99], a[92:93], v[40:41], v[96:99]// 00000000E578: D3F30060 0D82515C
	v_mfma_f32_16x16x32_fp8_fp8 v[92:95], a[78:79], v[42:43], v[92:95]// 00000000E580: D3F3005C 0D72554E
	v_mfma_f32_16x16x32_fp8_fp8 v[96:99], a[94:95], v[42:43], v[96:99]// 00000000E588: D3F30060 0D82555E
	s_waitcnt lgkmcnt(3)                                       // 00000000E590: BF8CC37F
	v_mfma_f32_16x16x32_fp8_fp8 v[100:103], a[64:65], v[44:45], 0// 00000000E594: D3F30064 0A025940
	v_mfma_f32_16x16x32_fp8_fp8 v[104:107], a[80:81], v[44:45], 0// 00000000E59C: D3F30068 0A025950
	v_mfma_f32_16x16x32_fp8_fp8 v[100:103], a[66:67], v[46:47], v[100:103]// 00000000E5A4: D3F30064 0D925D42
	v_mfma_f32_16x16x32_fp8_fp8 v[104:107], a[82:83], v[46:47], v[104:107]// 00000000E5AC: D3F30068 0DA25D52
	s_waitcnt lgkmcnt(2)                                       // 00000000E5B4: BF8CC27F
	v_mfma_f32_16x16x32_fp8_fp8 v[100:103], a[68:69], v[48:49], v[100:103]// 00000000E5B8: D3F30064 0D926144
	v_mfma_f32_16x16x32_fp8_fp8 v[104:107], a[84:85], v[48:49], v[104:107]// 00000000E5C0: D3F30068 0DA26154
	v_mfma_f32_16x16x32_fp8_fp8 v[100:103], a[70:71], v[50:51], v[100:103]// 00000000E5C8: D3F30064 0D926546
	v_mfma_f32_16x16x32_fp8_fp8 v[104:107], a[86:87], v[50:51], v[104:107]// 00000000E5D0: D3F30068 0DA26556
	s_waitcnt lgkmcnt(1)                                       // 00000000E5D8: BF8CC17F
	v_mfma_f32_16x16x32_fp8_fp8 v[100:103], a[72:73], v[52:53], v[100:103]// 00000000E5DC: D3F30064 0D926948
	v_mfma_f32_16x16x32_fp8_fp8 v[104:107], a[88:89], v[52:53], v[104:107]// 00000000E5E4: D3F30068 0DA26958
	v_mfma_f32_16x16x32_fp8_fp8 v[100:103], a[74:75], v[54:55], v[100:103]// 00000000E5EC: D3F30064 0D926D4A
	v_mfma_f32_16x16x32_fp8_fp8 v[104:107], a[90:91], v[54:55], v[104:107]// 00000000E5F4: D3F30068 0DA26D5A
	s_waitcnt lgkmcnt(0)                                       // 00000000E5FC: BF8CC07F
	v_mfma_f32_16x16x32_fp8_fp8 v[100:103], a[76:77], v[56:57], v[100:103]// 00000000E600: D3F30064 0D92714C
	v_mfma_f32_16x16x32_fp8_fp8 v[104:107], a[92:93], v[56:57], v[104:107]// 00000000E608: D3F30068 0DA2715C
	v_mfma_f32_16x16x32_fp8_fp8 v[100:103], a[78:79], v[58:59], v[100:103]// 00000000E610: D3F30064 0D92754E
	v_mfma_f32_16x16x32_fp8_fp8 v[104:107], a[94:95], v[58:59], v[104:107]// 00000000E618: D3F30068 0DA2755E
	s_branch label_3538                                        // 00000000E620: BF8203EF

000000000000e624 <label_3149>:
	s_waitcnt vmcnt(10)                                        // 00000000E624: BF8C0F7A
	v_mfma_f32_16x16x32_fp8_fp8 v[28:31], a[32:33], v[12:13], 0// 00000000E628: D3F3001C 0A021920
	v_mfma_f32_16x16x32_fp8_fp8 v[28:31], a[34:35], v[14:15], v[28:31]// 00000000E630: D3F3001C 0C721D22
	v_mfma_f32_16x16x32_fp8_fp8 v[28:31], a[36:37], v[16:17], v[28:31]// 00000000E638: D3F3001C 0C722124
	v_mfma_f32_16x16x32_fp8_fp8 v[28:31], a[38:39], v[18:19], v[28:31]// 00000000E640: D3F3001C 0C722526
	v_mfma_f32_16x16x32_fp8_fp8 v[32:35], a[40:41], v[12:13], 0// 00000000E648: D3F30020 0A021928
	v_mfma_f32_16x16x32_fp8_fp8 v[32:35], a[42:43], v[14:15], v[32:35]// 00000000E650: D3F30020 0C821D2A
	v_mfma_f32_16x16x32_fp8_fp8 v[32:35], a[44:45], v[16:17], v[32:35]// 00000000E658: D3F30020 0C82212C
	v_mfma_f32_16x16x32_fp8_fp8 v[32:35], a[46:47], v[18:19], v[32:35]// 00000000E660: D3F30020 0C82252E
	v_mfma_f32_16x16x32_fp8_fp8 v[36:39], a[48:49], v[12:13], 0// 00000000E668: D3F30024 0A021930
	v_mfma_f32_16x16x32_fp8_fp8 v[36:39], a[50:51], v[14:15], v[36:39]// 00000000E670: D3F30024 0C921D32
	v_mfma_f32_16x16x32_fp8_fp8 v[36:39], a[52:53], v[16:17], v[36:39]// 00000000E678: D3F30024 0C922134
	v_mfma_f32_16x16x32_fp8_fp8 v[36:39], a[54:55], v[18:19], v[36:39]// 00000000E680: D3F30024 0C922536
	v_mfma_f32_16x16x32_fp8_fp8 v[40:43], a[56:57], v[12:13], 0// 00000000E688: D3F30028 0A021938
	v_mfma_f32_16x16x32_fp8_fp8 v[40:43], a[58:59], v[14:15], v[40:43]// 00000000E690: D3F30028 0CA21D3A
	v_mfma_f32_16x16x32_fp8_fp8 v[40:43], a[60:61], v[16:17], v[40:43]// 00000000E698: D3F30028 0CA2213C
	v_mfma_f32_16x16x32_fp8_fp8 v[40:43], a[62:63], v[18:19], v[40:43]// 00000000E6A0: D3F30028 0CA2253E
	v_mfma_f32_16x16x32_fp8_fp8 v[44:47], a[32:33], v[20:21], 0// 00000000E6A8: D3F3002C 0A022920
	v_mfma_f32_16x16x32_fp8_fp8 v[44:47], a[34:35], v[22:23], v[44:47]// 00000000E6B0: D3F3002C 0CB22D22
	v_mfma_f32_16x16x32_fp8_fp8 v[44:47], a[36:37], v[24:25], v[44:47]// 00000000E6B8: D3F3002C 0CB23124
	v_mfma_f32_16x16x32_fp8_fp8 v[44:47], a[38:39], v[26:27], v[44:47]// 00000000E6C0: D3F3002C 0CB23526
	v_mfma_f32_16x16x32_fp8_fp8 v[48:51], a[40:41], v[20:21], 0// 00000000E6C8: D3F30030 0A022928
	v_mfma_f32_16x16x32_fp8_fp8 v[48:51], a[42:43], v[22:23], v[48:51]// 00000000E6D0: D3F30030 0CC22D2A
	v_mfma_f32_16x16x32_fp8_fp8 v[48:51], a[44:45], v[24:25], v[48:51]// 00000000E6D8: D3F30030 0CC2312C
	v_mfma_f32_16x16x32_fp8_fp8 v[48:51], a[46:47], v[26:27], v[48:51]// 00000000E6E0: D3F30030 0CC2352E
	v_mfma_f32_16x16x32_fp8_fp8 v[52:55], a[48:49], v[20:21], 0// 00000000E6E8: D3F30034 0A022930
	v_mfma_f32_16x16x32_fp8_fp8 v[52:55], a[50:51], v[22:23], v[52:55]// 00000000E6F0: D3F30034 0CD22D32
	v_mfma_f32_16x16x32_fp8_fp8 v[52:55], a[52:53], v[24:25], v[52:55]// 00000000E6F8: D3F30034 0CD23134
	v_mfma_f32_16x16x32_fp8_fp8 v[52:55], a[54:55], v[26:27], v[52:55]// 00000000E700: D3F30034 0CD23536
	v_mfma_f32_16x16x32_fp8_fp8 v[56:59], a[56:57], v[20:21], 0// 00000000E708: D3F30038 0A022938
	v_mfma_f32_16x16x32_fp8_fp8 v[56:59], a[58:59], v[22:23], v[56:59]// 00000000E710: D3F30038 0CE22D3A
	v_mfma_f32_16x16x32_fp8_fp8 v[56:59], a[60:61], v[24:25], v[56:59]// 00000000E718: D3F30038 0CE2313C
	v_mfma_f32_16x16x32_fp8_fp8 v[56:59], a[62:63], v[26:27], v[56:59]// 00000000E720: D3F30038 0CE2353E
	s_waitcnt vmcnt(8)                                         // 00000000E728: BF8C0F78
	v_pk_mul_f32 v[28:29], v[124:125], v[28:29]                // 00000000E72C: D3B1401C 1802397C
	v_pk_mul_f32 v[30:31], v[124:125], v[30:31]                // 00000000E734: D3B1401E 18023D7C
	v_mul_f32_dpp v28, v129, v28 row_newbcast:0 row_mask:0xf bank_mask:0xf// 00000000E73C: 0A3838FA FF015081
	v_mul_f32_dpp v29, v129, v29 row_newbcast:1 row_mask:0xf bank_mask:0xf// 00000000E744: 0A3A3AFA FF015181
	v_mul_f32_dpp v30, v129, v30 row_newbcast:2 row_mask:0xf bank_mask:0xf// 00000000E74C: 0A3C3CFA FF015281
	v_mul_f32_dpp v31, v129, v31 row_newbcast:3 row_mask:0xf bank_mask:0xf// 00000000E754: 0A3E3EFA FF015381
	v_pk_mul_f32 v[32:33], v[124:125], v[32:33]                // 00000000E75C: D3B14020 1802417C
	v_pk_mul_f32 v[34:35], v[124:125], v[34:35]                // 00000000E764: D3B14022 1802457C
	v_mul_f32_dpp v32, v129, v32 row_newbcast:4 row_mask:0xf bank_mask:0xf// 00000000E76C: 0A4040FA FF015481
	v_mul_f32_dpp v33, v129, v33 row_newbcast:5 row_mask:0xf bank_mask:0xf// 00000000E774: 0A4242FA FF015581
	v_mul_f32_dpp v34, v129, v34 row_newbcast:6 row_mask:0xf bank_mask:0xf// 00000000E77C: 0A4444FA FF015681
	v_mul_f32_dpp v35, v129, v35 row_newbcast:7 row_mask:0xf bank_mask:0xf// 00000000E784: 0A4646FA FF015781
	v_pk_mul_f32 v[36:37], v[124:125], v[36:37]                // 00000000E78C: D3B14024 1802497C
	v_pk_mul_f32 v[38:39], v[124:125], v[38:39]                // 00000000E794: D3B14026 18024D7C
	v_mul_f32_dpp v36, v129, v36 row_newbcast:8 row_mask:0xf bank_mask:0xf// 00000000E79C: 0A4848FA FF015881
	v_mul_f32_dpp v37, v129, v37 row_newbcast:9 row_mask:0xf bank_mask:0xf// 00000000E7A4: 0A4A4AFA FF015981
	v_mul_f32_dpp v38, v129, v38 row_newbcast:10 row_mask:0xf bank_mask:0xf// 00000000E7AC: 0A4C4CFA FF015A81
	v_mul_f32_dpp v39, v129, v39 row_newbcast:11 row_mask:0xf bank_mask:0xf// 00000000E7B4: 0A4E4EFA FF015B81
	v_pk_mul_f32 v[40:41], v[124:125], v[40:41]                // 00000000E7BC: D3B14028 1802517C
	v_pk_mul_f32 v[42:43], v[124:125], v[42:43]                // 00000000E7C4: D3B1402A 1802557C
	v_mul_f32_dpp v40, v129, v40 row_newbcast:12 row_mask:0xf bank_mask:0xf// 00000000E7CC: 0A5050FA FF015C81
	v_mul_f32_dpp v41, v129, v41 row_newbcast:13 row_mask:0xf bank_mask:0xf// 00000000E7D4: 0A5252FA FF015D81
	v_mul_f32_dpp v42, v129, v42 row_newbcast:14 row_mask:0xf bank_mask:0xf// 00000000E7DC: 0A5454FA FF015E81
	v_mul_f32_dpp v43, v129, v43 row_newbcast:15 row_mask:0xf bank_mask:0xf// 00000000E7E4: 0A5656FA FF015F81
	v_pk_mul_f32 v[44:45], v[126:127], v[44:45]                // 00000000E7EC: D3B1402C 1802597E
	v_pk_mul_f32 v[46:47], v[126:127], v[46:47]                // 00000000E7F4: D3B1402E 18025D7E
	v_mul_f32_dpp v44, v129, v44 row_newbcast:0 row_mask:0xf bank_mask:0xf// 00000000E7FC: 0A5858FA FF015081
	v_mul_f32_dpp v45, v129, v45 row_newbcast:1 row_mask:0xf bank_mask:0xf// 00000000E804: 0A5A5AFA FF015181
	v_mul_f32_dpp v46, v129, v46 row_newbcast:2 row_mask:0xf bank_mask:0xf// 00000000E80C: 0A5C5CFA FF015281
	v_mul_f32_dpp v47, v129, v47 row_newbcast:3 row_mask:0xf bank_mask:0xf// 00000000E814: 0A5E5EFA FF015381
	v_pk_mul_f32 v[48:49], v[126:127], v[48:49]                // 00000000E81C: D3B14030 1802617E
	v_pk_mul_f32 v[50:51], v[126:127], v[50:51]                // 00000000E824: D3B14032 1802657E
	v_mul_f32_dpp v48, v129, v48 row_newbcast:4 row_mask:0xf bank_mask:0xf// 00000000E82C: 0A6060FA FF015481
	v_mul_f32_dpp v49, v129, v49 row_newbcast:5 row_mask:0xf bank_mask:0xf// 00000000E834: 0A6262FA FF015581
	v_mul_f32_dpp v50, v129, v50 row_newbcast:6 row_mask:0xf bank_mask:0xf// 00000000E83C: 0A6464FA FF015681
	v_mul_f32_dpp v51, v129, v51 row_newbcast:7 row_mask:0xf bank_mask:0xf// 00000000E844: 0A6666FA FF015781
	v_pk_mul_f32 v[52:53], v[126:127], v[52:53]                // 00000000E84C: D3B14034 1802697E
	v_pk_mul_f32 v[54:55], v[126:127], v[54:55]                // 00000000E854: D3B14036 18026D7E
	v_mul_f32_dpp v52, v129, v52 row_newbcast:8 row_mask:0xf bank_mask:0xf// 00000000E85C: 0A6868FA FF015881
	v_mul_f32_dpp v53, v129, v53 row_newbcast:9 row_mask:0xf bank_mask:0xf// 00000000E864: 0A6A6AFA FF015981
	v_mul_f32_dpp v54, v129, v54 row_newbcast:10 row_mask:0xf bank_mask:0xf// 00000000E86C: 0A6C6CFA FF015A81
	v_mul_f32_dpp v55, v129, v55 row_newbcast:11 row_mask:0xf bank_mask:0xf// 00000000E874: 0A6E6EFA FF015B81
	v_pk_mul_f32 v[56:57], v[126:127], v[56:57]                // 00000000E87C: D3B14038 1802717E
	v_pk_mul_f32 v[58:59], v[126:127], v[58:59]                // 00000000E884: D3B1403A 1802757E
	v_mul_f32_dpp v56, v129, v56 row_newbcast:12 row_mask:0xf bank_mask:0xf// 00000000E88C: 0A7070FA FF015C81
	v_mul_f32_dpp v57, v129, v57 row_newbcast:13 row_mask:0xf bank_mask:0xf// 00000000E894: 0A7272FA FF015D81
	v_mul_f32_dpp v58, v129, v58 row_newbcast:14 row_mask:0xf bank_mask:0xf// 00000000E89C: 0A7474FA FF015E81
	v_mul_f32_dpp v59, v129, v59 row_newbcast:15 row_mask:0xf bank_mask:0xf// 00000000E8A4: 0A7676FA FF015F81
	v_add_u32_e32 v184, s49, v194                              // 00000000E8AC: 69718431
	v_add_u32_e32 v185, 0, v184                                // 00000000E8B0: 69737080
	v_cmp_lt_u32_e64 s[92:93], v185, v192                      // 00000000E8B4: D0C9005C 000381B9
	s_nop 0                                                    // 00000000E8BC: BF800000
	v_cndmask_b32_e64 v28, v195, v28, s[92:93]                 // 00000000E8C0: D100001C 017239C3
	v_add_u32_e32 v185, 1, v184                                // 00000000E8C8: 69737081
	v_cmp_lt_u32_e64 s[92:93], v185, v192                      // 00000000E8CC: D0C9005C 000381B9
	s_nop 0                                                    // 00000000E8D4: BF800000
	v_cndmask_b32_e64 v29, v195, v29, s[92:93]                 // 00000000E8D8: D100001D 01723BC3
	v_add_u32_e32 v185, 2, v184                                // 00000000E8E0: 69737082
	v_cmp_lt_u32_e64 s[92:93], v185, v192                      // 00000000E8E4: D0C9005C 000381B9
	s_nop 0                                                    // 00000000E8EC: BF800000
	v_cndmask_b32_e64 v30, v195, v30, s[92:93]                 // 00000000E8F0: D100001E 01723DC3
	v_add_u32_e32 v185, 3, v184                                // 00000000E8F8: 69737083
	v_cmp_lt_u32_e64 s[92:93], v185, v192                      // 00000000E8FC: D0C9005C 000381B9
	s_nop 0                                                    // 00000000E904: BF800000
	v_cndmask_b32_e64 v31, v195, v31, s[92:93]                 // 00000000E908: D100001F 01723FC3
	v_add_u32_e32 v185, 64, v184                               // 00000000E910: 697370C0
	v_cmp_lt_u32_e64 s[92:93], v185, v192                      // 00000000E914: D0C9005C 000381B9
	s_nop 0                                                    // 00000000E91C: BF800000
	v_cndmask_b32_e64 v32, v195, v32, s[92:93]                 // 00000000E920: D1000020 017241C3
	v_add_u32_e32 v185, 0x41, v184                             // 00000000E928: 697370FF 00000041
	v_cmp_lt_u32_e64 s[92:93], v185, v192                      // 00000000E930: D0C9005C 000381B9
	s_nop 0                                                    // 00000000E938: BF800000
	v_cndmask_b32_e64 v33, v195, v33, s[92:93]                 // 00000000E93C: D1000021 017243C3
	v_add_u32_e32 v185, 0x42, v184                             // 00000000E944: 697370FF 00000042
	v_cmp_lt_u32_e64 s[92:93], v185, v192                      // 00000000E94C: D0C9005C 000381B9
	s_nop 0                                                    // 00000000E954: BF800000
	v_cndmask_b32_e64 v34, v195, v34, s[92:93]                 // 00000000E958: D1000022 017245C3
	v_add_u32_e32 v185, 0x43, v184                             // 00000000E960: 697370FF 00000043
	v_cmp_lt_u32_e64 s[92:93], v185, v192                      // 00000000E968: D0C9005C 000381B9
	s_nop 0                                                    // 00000000E970: BF800000
	v_cndmask_b32_e64 v35, v195, v35, s[92:93]                 // 00000000E974: D1000023 017247C3
	v_add_u32_e32 v185, 0x80, v184                             // 00000000E97C: 697370FF 00000080
	v_cmp_lt_u32_e64 s[92:93], v185, v192                      // 00000000E984: D0C9005C 000381B9
	s_nop 0                                                    // 00000000E98C: BF800000
	v_cndmask_b32_e64 v36, v195, v36, s[92:93]                 // 00000000E990: D1000024 017249C3
	v_add_u32_e32 v185, 0x81, v184                             // 00000000E998: 697370FF 00000081
	v_cmp_lt_u32_e64 s[92:93], v185, v192                      // 00000000E9A0: D0C9005C 000381B9
	s_nop 0                                                    // 00000000E9A8: BF800000
	v_cndmask_b32_e64 v37, v195, v37, s[92:93]                 // 00000000E9AC: D1000025 01724BC3
	v_add_u32_e32 v185, 0x82, v184                             // 00000000E9B4: 697370FF 00000082
	v_cmp_lt_u32_e64 s[92:93], v185, v192                      // 00000000E9BC: D0C9005C 000381B9
	s_nop 0                                                    // 00000000E9C4: BF800000
	v_cndmask_b32_e64 v38, v195, v38, s[92:93]                 // 00000000E9C8: D1000026 01724DC3
	v_add_u32_e32 v185, 0x83, v184                             // 00000000E9D0: 697370FF 00000083
	v_cmp_lt_u32_e64 s[92:93], v185, v192                      // 00000000E9D8: D0C9005C 000381B9
	s_nop 0                                                    // 00000000E9E0: BF800000
	v_cndmask_b32_e64 v39, v195, v39, s[92:93]                 // 00000000E9E4: D1000027 01724FC3
	v_add_u32_e32 v185, 0xc0, v184                             // 00000000E9EC: 697370FF 000000C0
	v_cmp_lt_u32_e64 s[92:93], v185, v192                      // 00000000E9F4: D0C9005C 000381B9
	s_nop 0                                                    // 00000000E9FC: BF800000
	v_cndmask_b32_e64 v40, v195, v40, s[92:93]                 // 00000000EA00: D1000028 017251C3
	v_add_u32_e32 v185, 0xc1, v184                             // 00000000EA08: 697370FF 000000C1
	v_cmp_lt_u32_e64 s[92:93], v185, v192                      // 00000000EA10: D0C9005C 000381B9
	s_nop 0                                                    // 00000000EA18: BF800000
	v_cndmask_b32_e64 v41, v195, v41, s[92:93]                 // 00000000EA1C: D1000029 017253C3
	v_add_u32_e32 v185, 0xc2, v184                             // 00000000EA24: 697370FF 000000C2
	v_cmp_lt_u32_e64 s[92:93], v185, v192                      // 00000000EA2C: D0C9005C 000381B9
	s_nop 0                                                    // 00000000EA34: BF800000
	v_cndmask_b32_e64 v42, v195, v42, s[92:93]                 // 00000000EA38: D100002A 017255C3
	v_add_u32_e32 v185, 0xc3, v184                             // 00000000EA40: 697370FF 000000C3
	v_cmp_lt_u32_e64 s[92:93], v185, v192                      // 00000000EA48: D0C9005C 000381B9
	s_nop 0                                                    // 00000000EA50: BF800000
	v_cndmask_b32_e64 v43, v195, v43, s[92:93]                 // 00000000EA54: D100002B 017257C3
	v_add_u32_e32 v185, 0, v184                                // 00000000EA5C: 69737080
	v_cmp_lt_u32_e64 s[92:93], v185, v193                      // 00000000EA60: D0C9005C 000383B9
	s_nop 0                                                    // 00000000EA68: BF800000
	v_cndmask_b32_e64 v44, v195, v44, s[92:93]                 // 00000000EA6C: D100002C 017259C3
	v_add_u32_e32 v185, 1, v184                                // 00000000EA74: 69737081
	v_cmp_lt_u32_e64 s[92:93], v185, v193                      // 00000000EA78: D0C9005C 000383B9
	s_nop 0                                                    // 00000000EA80: BF800000
	v_cndmask_b32_e64 v45, v195, v45, s[92:93]                 // 00000000EA84: D100002D 01725BC3
	v_add_u32_e32 v185, 2, v184                                // 00000000EA8C: 69737082
	v_cmp_lt_u32_e64 s[92:93], v185, v193                      // 00000000EA90: D0C9005C 000383B9
	s_nop 0                                                    // 00000000EA98: BF800000
	v_cndmask_b32_e64 v46, v195, v46, s[92:93]                 // 00000000EA9C: D100002E 01725DC3
	v_add_u32_e32 v185, 3, v184                                // 00000000EAA4: 69737083
	v_cmp_lt_u32_e64 s[92:93], v185, v193                      // 00000000EAA8: D0C9005C 000383B9
	s_nop 0                                                    // 00000000EAB0: BF800000
	v_cndmask_b32_e64 v47, v195, v47, s[92:93]                 // 00000000EAB4: D100002F 01725FC3
	v_add_u32_e32 v185, 64, v184                               // 00000000EABC: 697370C0
	v_cmp_lt_u32_e64 s[92:93], v185, v193                      // 00000000EAC0: D0C9005C 000383B9
	s_nop 0                                                    // 00000000EAC8: BF800000
	v_cndmask_b32_e64 v48, v195, v48, s[92:93]                 // 00000000EACC: D1000030 017261C3
	v_add_u32_e32 v185, 0x41, v184                             // 00000000EAD4: 697370FF 00000041
	v_cmp_lt_u32_e64 s[92:93], v185, v193                      // 00000000EADC: D0C9005C 000383B9
	s_nop 0                                                    // 00000000EAE4: BF800000
	v_cndmask_b32_e64 v49, v195, v49, s[92:93]                 // 00000000EAE8: D1000031 017263C3
	v_add_u32_e32 v185, 0x42, v184                             // 00000000EAF0: 697370FF 00000042
	v_cmp_lt_u32_e64 s[92:93], v185, v193                      // 00000000EAF8: D0C9005C 000383B9
	s_nop 0                                                    // 00000000EB00: BF800000
	v_cndmask_b32_e64 v50, v195, v50, s[92:93]                 // 00000000EB04: D1000032 017265C3
	v_add_u32_e32 v185, 0x43, v184                             // 00000000EB0C: 697370FF 00000043
	v_cmp_lt_u32_e64 s[92:93], v185, v193                      // 00000000EB14: D0C9005C 000383B9
	s_nop 0                                                    // 00000000EB1C: BF800000
	v_cndmask_b32_e64 v51, v195, v51, s[92:93]                 // 00000000EB20: D1000033 017267C3
	v_add_u32_e32 v185, 0x80, v184                             // 00000000EB28: 697370FF 00000080
	v_cmp_lt_u32_e64 s[92:93], v185, v193                      // 00000000EB30: D0C9005C 000383B9
	s_nop 0                                                    // 00000000EB38: BF800000
	v_cndmask_b32_e64 v52, v195, v52, s[92:93]                 // 00000000EB3C: D1000034 017269C3
	v_add_u32_e32 v185, 0x81, v184                             // 00000000EB44: 697370FF 00000081
	v_cmp_lt_u32_e64 s[92:93], v185, v193                      // 00000000EB4C: D0C9005C 000383B9
	s_nop 0                                                    // 00000000EB54: BF800000
	v_cndmask_b32_e64 v53, v195, v53, s[92:93]                 // 00000000EB58: D1000035 01726BC3
	v_add_u32_e32 v185, 0x82, v184                             // 00000000EB60: 697370FF 00000082
	v_cmp_lt_u32_e64 s[92:93], v185, v193                      // 00000000EB68: D0C9005C 000383B9
	s_nop 0                                                    // 00000000EB70: BF800000
	v_cndmask_b32_e64 v54, v195, v54, s[92:93]                 // 00000000EB74: D1000036 01726DC3
	v_add_u32_e32 v185, 0x83, v184                             // 00000000EB7C: 697370FF 00000083
	v_cmp_lt_u32_e64 s[92:93], v185, v193                      // 00000000EB84: D0C9005C 000383B9
	s_nop 0                                                    // 00000000EB8C: BF800000
	v_cndmask_b32_e64 v55, v195, v55, s[92:93]                 // 00000000EB90: D1000037 01726FC3
	v_add_u32_e32 v185, 0xc0, v184                             // 00000000EB98: 697370FF 000000C0
	v_cmp_lt_u32_e64 s[92:93], v185, v193                      // 00000000EBA0: D0C9005C 000383B9
	s_nop 0                                                    // 00000000EBA8: BF800000
	v_cndmask_b32_e64 v56, v195, v56, s[92:93]                 // 00000000EBAC: D1000038 017271C3
	v_add_u32_e32 v185, 0xc1, v184                             // 00000000EBB4: 697370FF 000000C1
	v_cmp_lt_u32_e64 s[92:93], v185, v193                      // 00000000EBBC: D0C9005C 000383B9
	s_nop 0                                                    // 00000000EBC4: BF800000
	v_cndmask_b32_e64 v57, v195, v57, s[92:93]                 // 00000000EBC8: D1000039 017273C3
	v_add_u32_e32 v185, 0xc2, v184                             // 00000000EBD0: 697370FF 000000C2
	v_cmp_lt_u32_e64 s[92:93], v185, v193                      // 00000000EBD8: D0C9005C 000383B9
	s_nop 0                                                    // 00000000EBE0: BF800000
	v_cndmask_b32_e64 v58, v195, v58, s[92:93]                 // 00000000EBE4: D100003A 017275C3
	v_add_u32_e32 v185, 0xc3, v184                             // 00000000EBEC: 697370FF 000000C3
	v_cmp_lt_u32_e64 s[92:93], v185, v193                      // 00000000EBF4: D0C9005C 000383B9
	s_nop 0                                                    // 00000000EBFC: BF800000
	v_cndmask_b32_e64 v59, v195, v59, s[92:93]                 // 00000000EC00: D100003B 017277C3
	v_mov_b32_e32 v148, v28                                    // 00000000EC08: 7F28031C
	v_max3_f32 v148, v28, v29, v148                            // 00000000EC0C: D1D30094 06523B1C
	v_max3_f32 v148, v30, v31, v148                            // 00000000EC14: D1D30094 06523F1E
	v_max3_f32 v148, v32, v33, v148                            // 00000000EC1C: D1D30094 06524320
	v_max3_f32 v148, v34, v35, v148                            // 00000000EC24: D1D30094 06524722
	v_max3_f32 v148, v36, v37, v148                            // 00000000EC2C: D1D30094 06524B24
	v_max3_f32 v148, v38, v39, v148                            // 00000000EC34: D1D30094 06524F26
	v_max3_f32 v148, v40, v41, v148                            // 00000000EC3C: D1D30094 06525328
	v_max3_f32 v148, v42, v43, v148                            // 00000000EC44: D1D30094 0652572A
	v_mov_b32_e32 v149, v44                                    // 00000000EC4C: 7F2A032C
	v_max3_f32 v149, v44, v45, v149                            // 00000000EC50: D1D30095 06565B2C
	v_max3_f32 v149, v46, v47, v149                            // 00000000EC58: D1D30095 06565F2E
	v_max3_f32 v149, v48, v49, v149                            // 00000000EC60: D1D30095 06566330
	v_max3_f32 v149, v50, v51, v149                            // 00000000EC68: D1D30095 06566732
	v_max3_f32 v149, v52, v53, v149                            // 00000000EC70: D1D30095 06566B34
	v_max3_f32 v149, v54, v55, v149                            // 00000000EC78: D1D30095 06566F36
	v_max3_f32 v149, v56, v57, v149                            // 00000000EC80: D1D30095 06567338
	v_max3_f32 v149, v58, v59, v149                            // 00000000EC88: D1D30095 0656773A
	ds_write_b64 v214, v[148:149]                              // 00000000EC90: D89A0000 000094D6
	v_pk_mul_f32 v[108:109], v[140:141], v[108:109]            // 00000000EC98: D3B1406C 1802D98C
	v_pk_mul_f32 v[110:111], v[140:141], v[110:111]            // 00000000ECA0: D3B1406E 1802DD8C
	v_pk_mul_f32 v[112:113], v[140:141], v[112:113]            // 00000000ECA8: D3B14070 1802E18C
	v_pk_mul_f32 v[114:115], v[140:141], v[114:115]            // 00000000ECB0: D3B14072 1802E58C
	v_pk_mul_f32 v[116:117], v[142:143], v[116:117]            // 00000000ECB8: D3B14074 1802E98E
	v_pk_mul_f32 v[118:119], v[142:143], v[118:119]            // 00000000ECC0: D3B14076 1802ED8E
	v_pk_mul_f32 v[120:121], v[142:143], v[120:121]            // 00000000ECC8: D3B14078 1802F18E
	v_pk_mul_f32 v[122:123], v[142:143], v[122:123]            // 00000000ECD0: D3B1407A 1802F58E
	s_waitcnt lgkmcnt(0)                                       // 00000000ECD8: BF8CC07F
	s_barrier                                                  // 00000000ECDC: BF8A0000
	ds_read_b64 v[152:153], v215                               // 00000000ECE0: D8EC0000 980000D7
	ds_read_b64 v[154:155], v215 offset:128                    // 00000000ECE8: D8EC0080 9A0000D7
	ds_read_b64 v[156:157], v215 offset:256                    // 00000000ECF0: D8EC0100 9C0000D7
	ds_read_b64 v[158:159], v215 offset:384                    // 00000000ECF8: D8EC0180 9E0000D7
	ds_read_b64 v[160:161], v215 offset:512                    // 00000000ED00: D8EC0200 A00000D7
	ds_read_b64 v[162:163], v215 offset:640                    // 00000000ED08: D8EC0280 A20000D7
	ds_read_b64 v[164:165], v215 offset:768                    // 00000000ED10: D8EC0300 A40000D7
	ds_read_b64 v[166:167], v215 offset:896                    // 00000000ED18: D8EC0380 A60000D7
	ds_read_b64 v[168:169], v215 offset:1024                   // 00000000ED20: D8EC0400 A80000D7
	ds_read_b64 v[170:171], v215 offset:1152                   // 00000000ED28: D8EC0480 AA0000D7
	ds_read_b64 v[172:173], v215 offset:1280                   // 00000000ED30: D8EC0500 AC0000D7
	ds_read_b64 v[174:175], v215 offset:1408                   // 00000000ED38: D8EC0580 AE0000D7
	ds_read_b64 v[176:177], v215 offset:1536                   // 00000000ED40: D8EC0600 B00000D7
	ds_read_b64 v[178:179], v215 offset:1664                   // 00000000ED48: D8EC0680 B20000D7
	ds_read_b64 v[180:181], v215 offset:1792                   // 00000000ED50: D8EC0700 B40000D7
	ds_read_b64 v[182:183], v215 offset:1920                   // 00000000ED58: D8EC0780 B60000D7
	v_pk_mul_f32 v[92:93], v[132:133], v[92:93]                // 00000000ED60: D3B1405C 1802B984
	v_pk_mul_f32 v[94:95], v[132:133], v[94:95]                // 00000000ED68: D3B1405E 1802BD84
	v_pk_mul_f32 v[96:97], v[132:133], v[96:97]                // 00000000ED70: D3B14060 1802C184
	v_pk_mul_f32 v[98:99], v[132:133], v[98:99]                // 00000000ED78: D3B14062 1802C584
	v_pk_mul_f32 v[100:101], v[134:135], v[100:101]            // 00000000ED80: D3B14064 1802C986
	v_pk_mul_f32 v[102:103], v[134:135], v[102:103]            // 00000000ED88: D3B14066 1802CD86
	v_pk_mul_f32 v[104:105], v[134:135], v[104:105]            // 00000000ED90: D3B14068 1802D186
	v_pk_mul_f32 v[106:107], v[134:135], v[106:107]            // 00000000ED98: D3B1406A 1802D586
	s_waitcnt lgkmcnt(0)                                       // 00000000EDA0: BF8CC07F
	v_max3_f32 v148, v152, v154, v148                          // 00000000EDA4: D1D30094 06533598
	v_max3_f32 v149, v153, v155, v149                          // 00000000EDAC: D1D30095 06573799
	v_max3_f32 v148, v156, v158, v148                          // 00000000EDB4: D1D30094 06533D9C
	v_max3_f32 v149, v157, v159, v149                          // 00000000EDBC: D1D30095 06573F9D
	v_max3_f32 v148, v160, v162, v148                          // 00000000EDC4: D1D30094 065345A0
	v_max3_f32 v149, v161, v163, v149                          // 00000000EDCC: D1D30095 065747A1
	v_max3_f32 v148, v164, v166, v148                          // 00000000EDD4: D1D30094 06534DA4
	v_max3_f32 v149, v165, v167, v149                          // 00000000EDDC: D1D30095 06574FA5
	v_max3_f32 v148, v168, v170, v148                          // 00000000EDE4: D1D30094 065355A8
	v_max3_f32 v149, v169, v171, v149                          // 00000000EDEC: D1D30095 065757A9
	v_max3_f32 v148, v172, v174, v148                          // 00000000EDF4: D1D30094 06535DAC
	v_max3_f32 v149, v173, v175, v149                          // 00000000EDFC: D1D30095 06575FAD
	v_max3_f32 v148, v176, v178, v148                          // 00000000EE04: D1D30094 065365B0
	v_max3_f32 v149, v177, v179, v149                          // 00000000EE0C: D1D30095 065767B1
	v_max3_f32 v148, v180, v182, v148                          // 00000000EE14: D1D30094 06536DB4
	v_max3_f32 v149, v181, v183, v149                          // 00000000EE1C: D1D30095 06576FB5
	v_max_f32_e32 v138, v148, v136                             // 00000000EE24: 17151194
	v_mul_f32_e64 v184, -s51, v138                             // 00000000EE28: D10500B8 20031433
	v_mov_b32_e32 v185, v184                                   // 00000000EE30: 7F7203B8
	v_pk_fma_f32 v[28:29], v[28:29], s[68:69], v[184:185]      // 00000000EE34: D3B0401C 1EE0891C
	v_pk_fma_f32 v[30:31], v[30:31], s[68:69], v[184:185]      // 00000000EE3C: D3B0401E 1EE0891E
	v_exp_f32_e32 v28, v28                                     // 00000000EE44: 7E38411C
	v_exp_f32_e32 v29, v29                                     // 00000000EE48: 7E3A411D
	v_exp_f32_e32 v30, v30                                     // 00000000EE4C: 7E3C411E
	v_exp_f32_e32 v31, v31                                     // 00000000EE50: 7E3E411F
	v_pk_fma_f32 v[32:33], v[32:33], s[68:69], v[184:185]      // 00000000EE54: D3B04020 1EE08920
	v_pk_fma_f32 v[34:35], v[34:35], s[68:69], v[184:185]      // 00000000EE5C: D3B04022 1EE08922
	v_exp_f32_e32 v32, v32                                     // 00000000EE64: 7E404120
	v_exp_f32_e32 v33, v33                                     // 00000000EE68: 7E424121
	v_exp_f32_e32 v34, v34                                     // 00000000EE6C: 7E444122
	v_exp_f32_e32 v35, v35                                     // 00000000EE70: 7E464123
	v_pk_fma_f32 v[36:37], v[36:37], s[68:69], v[184:185]      // 00000000EE74: D3B04024 1EE08924
	v_pk_fma_f32 v[38:39], v[38:39], s[68:69], v[184:185]      // 00000000EE7C: D3B04026 1EE08926
	v_exp_f32_e32 v36, v36                                     // 00000000EE84: 7E484124
	v_exp_f32_e32 v37, v37                                     // 00000000EE88: 7E4A4125
	v_exp_f32_e32 v38, v38                                     // 00000000EE8C: 7E4C4126
	v_exp_f32_e32 v39, v39                                     // 00000000EE90: 7E4E4127
	v_pk_fma_f32 v[40:41], v[40:41], s[68:69], v[184:185]      // 00000000EE94: D3B04028 1EE08928
	v_pk_fma_f32 v[42:43], v[42:43], s[68:69], v[184:185]      // 00000000EE9C: D3B0402A 1EE0892A
	v_exp_f32_e32 v40, v40                                     // 00000000EEA4: 7E504128
	v_exp_f32_e32 v41, v41                                     // 00000000EEA8: 7E524129
	v_exp_f32_e32 v42, v42                                     // 00000000EEAC: 7E54412A
	v_exp_f32_e32 v43, v43                                     // 00000000EEB0: 7E56412B
	v_max_f32_e32 v139, v149, v137                             // 00000000EEB4: 17171395
	v_mul_f32_e64 v184, -s51, v139                             // 00000000EEB8: D10500B8 20031633
	v_mov_b32_e32 v185, v184                                   // 00000000EEC0: 7F7203B8
	v_pk_fma_f32 v[44:45], v[44:45], s[68:69], v[184:185]      // 00000000EEC4: D3B0402C 1EE0892C
	v_pk_fma_f32 v[46:47], v[46:47], s[68:69], v[184:185]      // 00000000EECC: D3B0402E 1EE0892E
	v_exp_f32_e32 v44, v44                                     // 00000000EED4: 7E58412C
	v_exp_f32_e32 v45, v45                                     // 00000000EED8: 7E5A412D
	v_exp_f32_e32 v46, v46                                     // 00000000EEDC: 7E5C412E
	v_exp_f32_e32 v47, v47                                     // 00000000EEE0: 7E5E412F
	v_pk_fma_f32 v[48:49], v[48:49], s[68:69], v[184:185]      // 00000000EEE4: D3B04030 1EE08930
	v_pk_fma_f32 v[50:51], v[50:51], s[68:69], v[184:185]      // 00000000EEEC: D3B04032 1EE08932
	v_exp_f32_e32 v48, v48                                     // 00000000EEF4: 7E604130
	v_exp_f32_e32 v49, v49                                     // 00000000EEF8: 7E624131
	v_exp_f32_e32 v50, v50                                     // 00000000EEFC: 7E644132
	v_exp_f32_e32 v51, v51                                     // 00000000EF00: 7E664133
	v_pk_fma_f32 v[52:53], v[52:53], s[68:69], v[184:185]      // 00000000EF04: D3B04034 1EE08934
	v_pk_fma_f32 v[54:55], v[54:55], s[68:69], v[184:185]      // 00000000EF0C: D3B04036 1EE08936
	v_exp_f32_e32 v52, v52                                     // 00000000EF14: 7E684134
	v_exp_f32_e32 v53, v53                                     // 00000000EF18: 7E6A4135
	v_exp_f32_e32 v54, v54                                     // 00000000EF1C: 7E6C4136
	v_exp_f32_e32 v55, v55                                     // 00000000EF20: 7E6E4137
	v_pk_fma_f32 v[56:57], v[56:57], s[68:69], v[184:185]      // 00000000EF24: D3B04038 1EE08938
	v_pk_fma_f32 v[58:59], v[58:59], s[68:69], v[184:185]      // 00000000EF2C: D3B0403A 1EE0893A
	v_exp_f32_e32 v56, v56                                     // 00000000EF34: 7E704138
	v_exp_f32_e32 v57, v57                                     // 00000000EF38: 7E724139
	v_exp_f32_e32 v58, v58                                     // 00000000EF3C: 7E74413A
	v_exp_f32_e32 v59, v59                                     // 00000000EF40: 7E76413B
	v_mul_f32_dpp v60, v131, v28 row_newbcast:0 row_mask:0xf bank_mask:0xf// 00000000EF44: 0A7838FA FF015083
	v_mul_f32_dpp v61, v131, v29 row_newbcast:1 row_mask:0xf bank_mask:0xf// 00000000EF4C: 0A7A3AFA FF015183
	v_mul_f32_dpp v62, v131, v30 row_newbcast:2 row_mask:0xf bank_mask:0xf// 00000000EF54: 0A7C3CFA FF015283
	v_mul_f32_dpp v63, v131, v31 row_newbcast:3 row_mask:0xf bank_mask:0xf// 00000000EF5C: 0A7E3EFA FF015383
	v_mul_f32_dpp v64, v131, v32 row_newbcast:4 row_mask:0xf bank_mask:0xf// 00000000EF64: 0A8040FA FF015483
	v_mul_f32_dpp v65, v131, v33 row_newbcast:5 row_mask:0xf bank_mask:0xf// 00000000EF6C: 0A8242FA FF015583
	v_mul_f32_dpp v66, v131, v34 row_newbcast:6 row_mask:0xf bank_mask:0xf// 00000000EF74: 0A8444FA FF015683
	v_mul_f32_dpp v67, v131, v35 row_newbcast:7 row_mask:0xf bank_mask:0xf// 00000000EF7C: 0A8646FA FF015783
	v_mul_f32_dpp v68, v131, v36 row_newbcast:8 row_mask:0xf bank_mask:0xf// 00000000EF84: 0A8848FA FF015883
	v_mul_f32_dpp v69, v131, v37 row_newbcast:9 row_mask:0xf bank_mask:0xf// 00000000EF8C: 0A8A4AFA FF015983
	v_mul_f32_dpp v70, v131, v38 row_newbcast:10 row_mask:0xf bank_mask:0xf// 00000000EF94: 0A8C4CFA FF015A83
	v_mul_f32_dpp v71, v131, v39 row_newbcast:11 row_mask:0xf bank_mask:0xf// 00000000EF9C: 0A8E4EFA FF015B83
	v_mul_f32_dpp v72, v131, v40 row_newbcast:12 row_mask:0xf bank_mask:0xf// 00000000EFA4: 0A9050FA FF015C83
	v_mul_f32_dpp v73, v131, v41 row_newbcast:13 row_mask:0xf bank_mask:0xf// 00000000EFAC: 0A9252FA FF015D83
	v_mul_f32_dpp v74, v131, v42 row_newbcast:14 row_mask:0xf bank_mask:0xf// 00000000EFB4: 0A9454FA FF015E83
	v_mul_f32_dpp v75, v131, v43 row_newbcast:15 row_mask:0xf bank_mask:0xf// 00000000EFBC: 0A9656FA FF015F83
	v_mul_f32_dpp v76, v131, v44 row_newbcast:0 row_mask:0xf bank_mask:0xf// 00000000EFC4: 0A9858FA FF015083
	v_mul_f32_dpp v77, v131, v45 row_newbcast:1 row_mask:0xf bank_mask:0xf// 00000000EFCC: 0A9A5AFA FF015183
	v_mul_f32_dpp v78, v131, v46 row_newbcast:2 row_mask:0xf bank_mask:0xf// 00000000EFD4: 0A9C5CFA FF015283
	v_mul_f32_dpp v79, v131, v47 row_newbcast:3 row_mask:0xf bank_mask:0xf// 00000000EFDC: 0A9E5EFA FF015383
	v_mul_f32_dpp v80, v131, v48 row_newbcast:4 row_mask:0xf bank_mask:0xf// 00000000EFE4: 0AA060FA FF015483
	v_mul_f32_dpp v81, v131, v49 row_newbcast:5 row_mask:0xf bank_mask:0xf// 00000000EFEC: 0AA262FA FF015583
	v_mul_f32_dpp v82, v131, v50 row_newbcast:6 row_mask:0xf bank_mask:0xf// 00000000EFF4: 0AA464FA FF015683
	v_mul_f32_dpp v83, v131, v51 row_newbcast:7 row_mask:0xf bank_mask:0xf// 00000000EFFC: 0AA666FA FF015783
	v_mul_f32_dpp v84, v131, v52 row_newbcast:8 row_mask:0xf bank_mask:0xf// 00000000F004: 0AA868FA FF015883
	v_mul_f32_dpp v85, v131, v53 row_newbcast:9 row_mask:0xf bank_mask:0xf// 00000000F00C: 0AAA6AFA FF015983
	v_mul_f32_dpp v86, v131, v54 row_newbcast:10 row_mask:0xf bank_mask:0xf// 00000000F014: 0AAC6CFA FF015A83
	v_mul_f32_dpp v87, v131, v55 row_newbcast:11 row_mask:0xf bank_mask:0xf// 00000000F01C: 0AAE6EFA FF015B83
	v_mul_f32_dpp v88, v131, v56 row_newbcast:12 row_mask:0xf bank_mask:0xf// 00000000F024: 0AB070FA FF015C83
	v_mul_f32_dpp v89, v131, v57 row_newbcast:13 row_mask:0xf bank_mask:0xf// 00000000F02C: 0AB272FA FF015D83
	v_mul_f32_dpp v90, v131, v58 row_newbcast:14 row_mask:0xf bank_mask:0xf// 00000000F034: 0AB474FA FF015E83
	v_mul_f32_dpp v91, v131, v59 row_newbcast:15 row_mask:0xf bank_mask:0xf// 00000000F03C: 0AB676FA FF015F83
	v_mov_b32_e32 v148, 0x358637bd                             // 00000000F044: 7F2802FF 358637BD
	v_max3_f32 v148, |v60|, |v61|, v148                        // 00000000F04C: D1D30394 06527B3C
	v_max3_f32 v148, |v62|, |v63|, v148                        // 00000000F054: D1D30394 06527F3E
	v_max3_f32 v148, |v64|, |v65|, v148                        // 00000000F05C: D1D30394 06528340
	v_max3_f32 v148, |v66|, |v67|, v148                        // 00000000F064: D1D30394 06528742
	v_max3_f32 v148, |v68|, |v69|, v148                        // 00000000F06C: D1D30394 06528B44
	v_max3_f32 v148, |v70|, |v71|, v148                        // 00000000F074: D1D30394 06528F46
	v_max3_f32 v148, |v72|, |v73|, v148                        // 00000000F07C: D1D30394 06529348
	v_max3_f32 v148, |v74|, |v75|, v148                        // 00000000F084: D1D30394 0652974A
	v_mov_b32_e32 v149, 0x358637bd                             // 00000000F08C: 7F2A02FF 358637BD
	v_max3_f32 v149, |v76|, |v77|, v149                        // 00000000F094: D1D30395 06569B4C
	v_max3_f32 v149, |v78|, |v79|, v149                        // 00000000F09C: D1D30395 06569F4E
	v_max3_f32 v149, |v80|, |v81|, v149                        // 00000000F0A4: D1D30395 0656A350
	v_max3_f32 v149, |v82|, |v83|, v149                        // 00000000F0AC: D1D30395 0656A752
	v_max3_f32 v149, |v84|, |v85|, v149                        // 00000000F0B4: D1D30395 0656AB54
	v_max3_f32 v149, |v86|, |v87|, v149                        // 00000000F0BC: D1D30395 0656AF56
	v_max3_f32 v149, |v88|, |v89|, v149                        // 00000000F0C4: D1D30395 0656B358
	v_max3_f32 v149, |v90|, |v91|, v149                        // 00000000F0CC: D1D30395 0656B75A
	ds_write_b64 v214, v[148:149] offset:2304                  // 00000000F0D4: D89A0900 000094D6
	v_sub_f32_e32 v140, v136, v138                             // 00000000F0DC: 05191588
	v_cmp_eq_u32_e64 s[92:93], v195, v136                      // 00000000F0E0: D0CA005C 000311C3
	s_nop 0                                                    // 00000000F0E8: BF800000
	v_cndmask_b32_e64 v140, v140, 0, s[92:93]                  // 00000000F0EC: D100008C 0171018C
	v_mov_b32_e32 v136, v138                                   // 00000000F0F4: 7F10038A
	v_mul_f32_e32 v140, s51, v140                              // 00000000F0F8: 0B191833
	v_exp_f32_e32 v140, v140                                   // 00000000F0FC: 7F18418C
	v_sub_f32_e32 v142, v137, v139                             // 00000000F100: 051D1789
	v_cmp_eq_u32_e64 s[92:93], v195, v137                      // 00000000F104: D0CA005C 000313C3
	s_nop 0                                                    // 00000000F10C: BF800000
	v_cndmask_b32_e64 v142, v142, 0, s[92:93]                  // 00000000F110: D100008E 0171018E
	v_mov_b32_e32 v137, v139                                   // 00000000F118: 7F12038B
	v_mul_f32_e32 v142, s51, v142                              // 00000000F11C: 0B1D1C33
	v_exp_f32_e32 v142, v142                                   // 00000000F120: 7F1C418E
	v_mov_b32_e32 v141, v140                                   // 00000000F124: 7F1A038C
	v_mov_b32_e32 v143, v142                                   // 00000000F128: 7F1E038E
	s_waitcnt lgkmcnt(0)                                       // 00000000F12C: BF8CC07F
	s_barrier                                                  // 00000000F130: BF8A0000
	ds_read_b64 v[152:153], v215 offset:2304                   // 00000000F134: D8EC0900 980000D7
	ds_read_b64 v[154:155], v215 offset:2432                   // 00000000F13C: D8EC0980 9A0000D7
	ds_read_b64 v[156:157], v215 offset:2560                   // 00000000F144: D8EC0A00 9C0000D7
	ds_read_b64 v[158:159], v215 offset:2688                   // 00000000F14C: D8EC0A80 9E0000D7
	ds_read_b64 v[160:161], v215 offset:2816                   // 00000000F154: D8EC0B00 A00000D7
	ds_read_b64 v[162:163], v215 offset:2944                   // 00000000F15C: D8EC0B80 A20000D7
	ds_read_b64 v[164:165], v215 offset:3072                   // 00000000F164: D8EC0C00 A40000D7
	ds_read_b64 v[166:167], v215 offset:3200                   // 00000000F16C: D8EC0C80 A60000D7
	ds_read_b64 v[168:169], v215 offset:3328                   // 00000000F174: D8EC0D00 A80000D7
	ds_read_b64 v[170:171], v215 offset:3456                   // 00000000F17C: D8EC0D80 AA0000D7
	ds_read_b64 v[172:173], v215 offset:3584                   // 00000000F184: D8EC0E00 AC0000D7
	ds_read_b64 v[174:175], v215 offset:3712                   // 00000000F18C: D8EC0E80 AE0000D7
	ds_read_b64 v[176:177], v215 offset:3840                   // 00000000F194: D8EC0F00 B00000D7
	ds_read_b64 v[178:179], v215 offset:3968                   // 00000000F19C: D8EC0F80 B20000D7
	ds_read_b64 v[180:181], v215 offset:4096                   // 00000000F1A4: D8EC1000 B40000D7
	ds_read_b64 v[182:183], v215 offset:4224                   // 00000000F1AC: D8EC1080 B60000D7
	v_mul_f32_e32 v144, v140, v144                             // 00000000F1B4: 0B21218C
	v_add_f32_e32 v144, v28, v144                              // 00000000F1B8: 0321211C
	v_add_f32_e32 v144, v29, v144                              // 00000000F1BC: 0321211D
	v_add_f32_e32 v144, v30, v144                              // 00000000F1C0: 0321211E
	v_add_f32_e32 v144, v31, v144                              // 00000000F1C4: 0321211F
	v_add_f32_e32 v144, v32, v144                              // 00000000F1C8: 03212120
	v_add_f32_e32 v144, v33, v144                              // 00000000F1CC: 03212121
	v_add_f32_e32 v144, v34, v144                              // 00000000F1D0: 03212122
	v_add_f32_e32 v144, v35, v144                              // 00000000F1D4: 03212123
	v_add_f32_e32 v144, v36, v144                              // 00000000F1D8: 03212124
	v_add_f32_e32 v144, v37, v144                              // 00000000F1DC: 03212125
	v_add_f32_e32 v144, v38, v144                              // 00000000F1E0: 03212126
	v_add_f32_e32 v144, v39, v144                              // 00000000F1E4: 03212127
	v_add_f32_e32 v144, v40, v144                              // 00000000F1E8: 03212128
	v_add_f32_e32 v144, v41, v144                              // 00000000F1EC: 03212129
	v_add_f32_e32 v144, v42, v144                              // 00000000F1F0: 0321212A
	v_add_f32_e32 v144, v43, v144                              // 00000000F1F4: 0321212B
	v_mul_f32_e32 v145, v142, v145                             // 00000000F1F8: 0B23238E
	v_add_f32_e32 v145, v44, v145                              // 00000000F1FC: 0323232C
	v_add_f32_e32 v145, v45, v145                              // 00000000F200: 0323232D
	v_add_f32_e32 v145, v46, v145                              // 00000000F204: 0323232E
	v_add_f32_e32 v145, v47, v145                              // 00000000F208: 0323232F
	v_add_f32_e32 v145, v48, v145                              // 00000000F20C: 03232330
	v_add_f32_e32 v145, v49, v145                              // 00000000F210: 03232331
	v_add_f32_e32 v145, v50, v145                              // 00000000F214: 03232332
	v_add_f32_e32 v145, v51, v145                              // 00000000F218: 03232333
	v_add_f32_e32 v145, v52, v145                              // 00000000F21C: 03232334
	v_add_f32_e32 v145, v53, v145                              // 00000000F220: 03232335
	v_add_f32_e32 v145, v54, v145                              // 00000000F224: 03232336
	v_add_f32_e32 v145, v55, v145                              // 00000000F228: 03232337
	v_add_f32_e32 v145, v56, v145                              // 00000000F22C: 03232338
	v_add_f32_e32 v145, v57, v145                              // 00000000F230: 03232339
	v_add_f32_e32 v145, v58, v145                              // 00000000F234: 0323233A
	v_add_f32_e32 v145, v59, v145                              // 00000000F238: 0323233B
	s_waitcnt lgkmcnt(0)                                       // 00000000F23C: BF8CC07F
	v_max3_f32 v148, v152, v154, v148                          // 00000000F240: D1D30094 06533598
	v_max3_f32 v149, v153, v155, v149                          // 00000000F248: D1D30095 06573799
	v_max3_f32 v148, v156, v158, v148                          // 00000000F250: D1D30094 06533D9C
	v_max3_f32 v149, v157, v159, v149                          // 00000000F258: D1D30095 06573F9D
	v_max3_f32 v148, v160, v162, v148                          // 00000000F260: D1D30094 065345A0
	v_max3_f32 v149, v161, v163, v149                          // 00000000F268: D1D30095 065747A1
	v_max3_f32 v148, v164, v166, v148                          // 00000000F270: D1D30094 06534DA4
	v_max3_f32 v149, v165, v167, v149                          // 00000000F278: D1D30095 06574FA5
	v_max3_f32 v148, v168, v170, v148                          // 00000000F280: D1D30094 065355A8
	v_max3_f32 v149, v169, v171, v149                          // 00000000F288: D1D30095 065757A9
	v_max3_f32 v148, v172, v174, v148                          // 00000000F290: D1D30094 06535DAC
	v_max3_f32 v149, v173, v175, v149                          // 00000000F298: D1D30095 06575FAD
	v_max3_f32 v148, v176, v178, v148                          // 00000000F2A0: D1D30094 065365B0
	v_max3_f32 v149, v177, v179, v149                          // 00000000F2A8: D1D30095 065767B1
	v_max3_f32 v148, v180, v182, v148                          // 00000000F2B0: D1D30094 06536DB4
	v_max3_f32 v149, v181, v183, v149                          // 00000000F2B8: D1D30095 06576FB5
	v_rcp_f32_e32 v148, v148                                   // 00000000F2C0: 7F284594
	v_rcp_f32_e32 v149, v149                                   // 00000000F2C4: 7F2A4595
	v_mul_f32_e32 v148, 0x43700000, v148                       // 00000000F2C8: 0B2928FF 43700000
	v_mul_f32_e32 v149, 0x43700000, v149                       // 00000000F2D0: 0B2B2AFF 43700000
	v_mov_b32_e32 v150, v149                                   // 00000000F2D8: 7F2C0395
	v_mov_b32_e32 v151, v149                                   // 00000000F2DC: 7F2E0395
	v_mov_b32_e32 v149, v148                                   // 00000000F2E0: 7F2A0394
	v_pk_mul_f32 v[28:29], v[148:149], v[60:61]                // 00000000F2E4: D3B1401C 18027994
	v_pk_mul_f32 v[30:31], v[148:149], v[62:63]                // 00000000F2EC: D3B1401E 18027D94
	v_pk_mul_f32 v[32:33], v[148:149], v[64:65]                // 00000000F2F4: D3B14020 18028194
	v_pk_mul_f32 v[34:35], v[148:149], v[66:67]                // 00000000F2FC: D3B14022 18028594
	v_pk_mul_f32 v[36:37], v[148:149], v[68:69]                // 00000000F304: D3B14024 18028994
	v_pk_mul_f32 v[38:39], v[148:149], v[70:71]                // 00000000F30C: D3B14026 18028D94
	v_pk_mul_f32 v[40:41], v[148:149], v[72:73]                // 00000000F314: D3B14028 18029194
	v_pk_mul_f32 v[42:43], v[148:149], v[74:75]                // 00000000F31C: D3B1402A 18029594
	v_pk_mul_f32 v[44:45], v[150:151], v[76:77]                // 00000000F324: D3B1402C 18029996
	v_pk_mul_f32 v[46:47], v[150:151], v[78:79]                // 00000000F32C: D3B1402E 18029D96
	v_pk_mul_f32 v[48:49], v[150:151], v[80:81]                // 00000000F334: D3B14030 1802A196
	v_pk_mul_f32 v[50:51], v[150:151], v[82:83]                // 00000000F33C: D3B14032 1802A596
	v_pk_mul_f32 v[52:53], v[150:151], v[84:85]                // 00000000F344: D3B14034 1802A996
	v_pk_mul_f32 v[54:55], v[150:151], v[86:87]                // 00000000F34C: D3B14036 1802AD96
	v_pk_mul_f32 v[56:57], v[150:151], v[88:89]                // 00000000F354: D3B14038 1802B196
	v_pk_mul_f32 v[58:59], v[150:151], v[90:91]                // 00000000F35C: D3B1403A 1802B596
	v_cvt_pk_fp8_f32 v28, v28, v29                             // 00000000F364: D2A2001C 00023B1C
	v_cvt_pk_fp8_f32 v28, v30, v31 op_sel:[0,0,1]              // 00000000F36C: D2A2401C 00023F1E
	v_cvt_pk_fp8_f32 v29, v32, v33                             // 00000000F374: D2A2001D 00024320
	v_cvt_pk_fp8_f32 v29, v34, v35 op_sel:[0,0,1]              // 00000000F37C: D2A2401D 00024722
	v_cvt_pk_fp8_f32 v30, v36, v37                             // 00000000F384: D2A2001E 00024B24
	v_cvt_pk_fp8_f32 v30, v38, v39 op_sel:[0,0,1]              // 00000000F38C: D2A2401E 00024F26
	v_cvt_pk_fp8_f32 v31, v40, v41                             // 00000000F394: D2A2001F 00025328
	v_cvt_pk_fp8_f32 v31, v42, v43 op_sel:[0,0,1]              // 00000000F39C: D2A2401F 0002572A
	v_cvt_pk_fp8_f32 v32, v44, v45                             // 00000000F3A4: D2A20020 00025B2C
	v_cvt_pk_fp8_f32 v32, v46, v47 op_sel:[0,0,1]              // 00000000F3AC: D2A24020 00025F2E
	v_cvt_pk_fp8_f32 v33, v48, v49                             // 00000000F3B4: D2A20021 00026330
	v_cvt_pk_fp8_f32 v33, v50, v51 op_sel:[0,0,1]              // 00000000F3BC: D2A24021 00026732
	v_cvt_pk_fp8_f32 v34, v52, v53                             // 00000000F3C4: D2A20022 00026B34
	v_cvt_pk_fp8_f32 v34, v54, v55 op_sel:[0,0,1]              // 00000000F3CC: D2A24022 00026F36
	v_cvt_pk_fp8_f32 v35, v56, v57                             // 00000000F3D4: D2A20023 00027338
	v_cvt_pk_fp8_f32 v35, v58, v59 op_sel:[0,0,1]              // 00000000F3DC: D2A24023 0002773A
	ds_write_b32 v216, v28 offset:4608                         // 00000000F3E4: D81A1200 00001CD8
	ds_write_b32 v216, v29 offset:5632                         // 00000000F3EC: D81A1600 00001DD8
	ds_write_b32 v216, v30 offset:6656                         // 00000000F3F4: D81A1A00 00001ED8
	ds_write_b32 v216, v31 offset:7680                         // 00000000F3FC: D81A1E00 00001FD8
	ds_write_b32 v216, v32 offset:8704                         // 00000000F404: D81A2200 000020D8
	ds_write_b32 v216, v33 offset:9728                         // 00000000F40C: D81A2600 000021D8
	ds_write_b32 v216, v34 offset:10752                        // 00000000F414: D81A2A00 000022D8
	ds_write_b32 v216, v35 offset:11776                        // 00000000F41C: D81A2E00 000023D8
	v_rcp_f32_e32 v132, v148                                   // 00000000F424: 7F084594
	v_rcp_f32_e32 v134, v150                                   // 00000000F428: 7F0C4596
	v_mov_b32_e32 v133, v132                                   // 00000000F42C: 7F0A0384
	v_mov_b32_e32 v135, v134                                   // 00000000F430: 7F0E0386
	v_pk_add_f32 v[108:109], v[108:109], v[92:93]              // 00000000F434: D3B2406C 1802B96C
	v_pk_add_f32 v[110:111], v[110:111], v[94:95]              // 00000000F43C: D3B2406E 1802BD6E
	v_pk_add_f32 v[112:113], v[112:113], v[96:97]              // 00000000F444: D3B24070 1802C170
	v_pk_add_f32 v[114:115], v[114:115], v[98:99]              // 00000000F44C: D3B24072 1802C572
	v_pk_add_f32 v[116:117], v[116:117], v[100:101]            // 00000000F454: D3B24074 1802C974
	v_pk_add_f32 v[118:119], v[118:119], v[102:103]            // 00000000F45C: D3B24076 1802CD76
	v_pk_add_f32 v[120:121], v[120:121], v[104:105]            // 00000000F464: D3B24078 1802D178
	v_pk_add_f32 v[122:123], v[122:123], v[106:107]            // 00000000F46C: D3B2407A 1802D57A
	s_waitcnt lgkmcnt(0)                                       // 00000000F474: BF8CC07F
	s_barrier                                                  // 00000000F478: BF8A0000
	ds_read_b128 v[28:31], v217 offset:4608                    // 00000000F47C: D9FE1200 1C0000D9
	ds_read_b128 v[32:35], v217 offset:5632                    // 00000000F484: D9FE1600 200000D9
	ds_read_b128 v[36:39], v217 offset:6656                    // 00000000F48C: D9FE1A00 240000D9
	ds_read_b128 v[40:43], v217 offset:7680                    // 00000000F494: D9FE1E00 280000D9
	ds_read_b128 v[44:47], v217 offset:8704                    // 00000000F49C: D9FE2200 2C0000D9
	ds_read_b128 v[48:51], v217 offset:9728                    // 00000000F4A4: D9FE2600 300000D9
	ds_read_b128 v[52:55], v217 offset:10752                   // 00000000F4AC: D9FE2A00 340000D9
	ds_read_b128 v[56:59], v217 offset:11776                   // 00000000F4B4: D9FE2E00 380000D9
	s_waitcnt vmcnt(0)                                         // 00000000F4BC: BF8C0F70
	s_waitcnt lgkmcnt(7)                                       // 00000000F4C0: BF8CC77F
	v_mfma_f32_16x16x32_fp8_fp8 v[92:95], a[96:97], v[28:29], 0// 00000000F4C4: D3F3005C 0A023960
	v_mfma_f32_16x16x32_fp8_fp8 v[96:99], a[112:113], v[28:29], 0// 00000000F4CC: D3F30060 0A023970
	v_mfma_f32_16x16x32_fp8_fp8 v[92:95], a[98:99], v[30:31], v[92:95]// 00000000F4D4: D3F3005C 0D723D62
	v_mfma_f32_16x16x32_fp8_fp8 v[96:99], a[114:115], v[30:31], v[96:99]// 00000000F4DC: D3F30060 0D823D72
	s_waitcnt lgkmcnt(6)                                       // 00000000F4E4: BF8CC67F
	v_mfma_f32_16x16x32_fp8_fp8 v[92:95], a[100:101], v[32:33], v[92:95]// 00000000F4E8: D3F3005C 0D724164
	v_mfma_f32_16x16x32_fp8_fp8 v[96:99], a[116:117], v[32:33], v[96:99]// 00000000F4F0: D3F30060 0D824174
	v_mfma_f32_16x16x32_fp8_fp8 v[92:95], a[102:103], v[34:35], v[92:95]// 00000000F4F8: D3F3005C 0D724566
	v_mfma_f32_16x16x32_fp8_fp8 v[96:99], a[118:119], v[34:35], v[96:99]// 00000000F500: D3F30060 0D824576
	s_waitcnt lgkmcnt(5)                                       // 00000000F508: BF8CC57F
	v_mfma_f32_16x16x32_fp8_fp8 v[92:95], a[104:105], v[36:37], v[92:95]// 00000000F50C: D3F3005C 0D724968
	v_mfma_f32_16x16x32_fp8_fp8 v[96:99], a[120:121], v[36:37], v[96:99]// 00000000F514: D3F30060 0D824978
	v_mfma_f32_16x16x32_fp8_fp8 v[92:95], a[106:107], v[38:39], v[92:95]// 00000000F51C: D3F3005C 0D724D6A
	v_mfma_f32_16x16x32_fp8_fp8 v[96:99], a[122:123], v[38:39], v[96:99]// 00000000F524: D3F30060 0D824D7A
	s_waitcnt lgkmcnt(4)                                       // 00000000F52C: BF8CC47F
	v_mfma_f32_16x16x32_fp8_fp8 v[92:95], a[108:109], v[40:41], v[92:95]// 00000000F530: D3F3005C 0D72516C
	v_mfma_f32_16x16x32_fp8_fp8 v[96:99], a[124:125], v[40:41], v[96:99]// 00000000F538: D3F30060 0D82517C
	v_mfma_f32_16x16x32_fp8_fp8 v[92:95], a[110:111], v[42:43], v[92:95]// 00000000F540: D3F3005C 0D72556E
	v_mfma_f32_16x16x32_fp8_fp8 v[96:99], a[126:127], v[42:43], v[96:99]// 00000000F548: D3F30060 0D82557E
	s_waitcnt lgkmcnt(3)                                       // 00000000F550: BF8CC37F
	v_mfma_f32_16x16x32_fp8_fp8 v[100:103], a[96:97], v[44:45], 0// 00000000F554: D3F30064 0A025960
	v_mfma_f32_16x16x32_fp8_fp8 v[104:107], a[112:113], v[44:45], 0// 00000000F55C: D3F30068 0A025970
	v_mfma_f32_16x16x32_fp8_fp8 v[100:103], a[98:99], v[46:47], v[100:103]// 00000000F564: D3F30064 0D925D62
	v_mfma_f32_16x16x32_fp8_fp8 v[104:107], a[114:115], v[46:47], v[104:107]// 00000000F56C: D3F30068 0DA25D72
	s_waitcnt lgkmcnt(2)                                       // 00000000F574: BF8CC27F
	v_mfma_f32_16x16x32_fp8_fp8 v[100:103], a[100:101], v[48:49], v[100:103]// 00000000F578: D3F30064 0D926164
	v_mfma_f32_16x16x32_fp8_fp8 v[104:107], a[116:117], v[48:49], v[104:107]// 00000000F580: D3F30068 0DA26174
	v_mfma_f32_16x16x32_fp8_fp8 v[100:103], a[102:103], v[50:51], v[100:103]// 00000000F588: D3F30064 0D926566
	v_mfma_f32_16x16x32_fp8_fp8 v[104:107], a[118:119], v[50:51], v[104:107]// 00000000F590: D3F30068 0DA26576
	s_waitcnt lgkmcnt(1)                                       // 00000000F598: BF8CC17F
	v_mfma_f32_16x16x32_fp8_fp8 v[100:103], a[104:105], v[52:53], v[100:103]// 00000000F59C: D3F30064 0D926968
	v_mfma_f32_16x16x32_fp8_fp8 v[104:107], a[120:121], v[52:53], v[104:107]// 00000000F5A4: D3F30068 0DA26978
	v_mfma_f32_16x16x32_fp8_fp8 v[100:103], a[106:107], v[54:55], v[100:103]// 00000000F5AC: D3F30064 0D926D6A
	v_mfma_f32_16x16x32_fp8_fp8 v[104:107], a[122:123], v[54:55], v[104:107]// 00000000F5B4: D3F30068 0DA26D7A
	s_waitcnt lgkmcnt(0)                                       // 00000000F5BC: BF8CC07F
	v_mfma_f32_16x16x32_fp8_fp8 v[100:103], a[108:109], v[56:57], v[100:103]// 00000000F5C0: D3F30064 0D92716C
	v_mfma_f32_16x16x32_fp8_fp8 v[104:107], a[124:125], v[56:57], v[104:107]// 00000000F5C8: D3F30068 0DA2717C
	v_mfma_f32_16x16x32_fp8_fp8 v[100:103], a[110:111], v[58:59], v[100:103]// 00000000F5D0: D3F30064 0D92756E
	v_mfma_f32_16x16x32_fp8_fp8 v[104:107], a[126:127], v[58:59], v[104:107]// 00000000F5D8: D3F30068 0DA2757E

000000000000f5e0 <label_3538>:
	ds_write_b64 v214, v[144:145]                              // 00000000F5E0: D89A0000 000090D6
	v_pk_mul_f32 v[108:109], v[140:141], v[108:109]            // 00000000F5E8: D3B1406C 1802D98C
	v_pk_mul_f32 v[110:111], v[140:141], v[110:111]            // 00000000F5F0: D3B1406E 1802DD8C
	v_pk_mul_f32 v[112:113], v[140:141], v[112:113]            // 00000000F5F8: D3B14070 1802E18C
	v_pk_mul_f32 v[114:115], v[140:141], v[114:115]            // 00000000F600: D3B14072 1802E58C
	v_pk_mul_f32 v[116:117], v[142:143], v[116:117]            // 00000000F608: D3B14074 1802E98E
	v_pk_mul_f32 v[118:119], v[142:143], v[118:119]            // 00000000F610: D3B14076 1802ED8E
	v_pk_mul_f32 v[120:121], v[142:143], v[120:121]            // 00000000F618: D3B14078 1802F18E
	v_pk_mul_f32 v[122:123], v[142:143], v[122:123]            // 00000000F620: D3B1407A 1802F58E
	s_waitcnt lgkmcnt(0)                                       // 00000000F628: BF8CC07F
	s_barrier                                                  // 00000000F62C: BF8A0000
	ds_read_b64 v[152:153], v215                               // 00000000F630: D8EC0000 980000D7
	ds_read_b64 v[154:155], v215 offset:128                    // 00000000F638: D8EC0080 9A0000D7
	ds_read_b64 v[156:157], v215 offset:256                    // 00000000F640: D8EC0100 9C0000D7
	ds_read_b64 v[158:159], v215 offset:384                    // 00000000F648: D8EC0180 9E0000D7
	ds_read_b64 v[160:161], v215 offset:512                    // 00000000F650: D8EC0200 A00000D7
	ds_read_b64 v[162:163], v215 offset:640                    // 00000000F658: D8EC0280 A20000D7
	ds_read_b64 v[164:165], v215 offset:768                    // 00000000F660: D8EC0300 A40000D7
	ds_read_b64 v[166:167], v215 offset:896                    // 00000000F668: D8EC0380 A60000D7
	ds_read_b64 v[168:169], v215 offset:1024                   // 00000000F670: D8EC0400 A80000D7
	ds_read_b64 v[170:171], v215 offset:1152                   // 00000000F678: D8EC0480 AA0000D7
	ds_read_b64 v[172:173], v215 offset:1280                   // 00000000F680: D8EC0500 AC0000D7
	ds_read_b64 v[174:175], v215 offset:1408                   // 00000000F688: D8EC0580 AE0000D7
	ds_read_b64 v[176:177], v215 offset:1536                   // 00000000F690: D8EC0600 B00000D7
	ds_read_b64 v[178:179], v215 offset:1664                   // 00000000F698: D8EC0680 B20000D7
	ds_read_b64 v[180:181], v215 offset:1792                   // 00000000F6A0: D8EC0700 B40000D7
	ds_read_b64 v[182:183], v215 offset:1920                   // 00000000F6A8: D8EC0780 B60000D7
	v_pk_mul_f32 v[92:93], v[132:133], v[92:93]                // 00000000F6B0: D3B1405C 1802B984
	v_pk_mul_f32 v[94:95], v[132:133], v[94:95]                // 00000000F6B8: D3B1405E 1802BD84
	v_pk_mul_f32 v[96:97], v[132:133], v[96:97]                // 00000000F6C0: D3B14060 1802C184
	v_pk_mul_f32 v[98:99], v[132:133], v[98:99]                // 00000000F6C8: D3B14062 1802C584
	v_pk_mul_f32 v[100:101], v[134:135], v[100:101]            // 00000000F6D0: D3B14064 1802C986
	v_pk_mul_f32 v[102:103], v[134:135], v[102:103]            // 00000000F6D8: D3B14066 1802CD86
	v_pk_mul_f32 v[104:105], v[134:135], v[104:105]            // 00000000F6E0: D3B14068 1802D186
	v_pk_mul_f32 v[106:107], v[134:135], v[106:107]            // 00000000F6E8: D3B1406A 1802D586
	v_pk_add_f32 v[108:109], v[108:109], v[92:93]              // 00000000F6F0: D3B2406C 1802B96C
	v_pk_add_f32 v[110:111], v[110:111], v[94:95]              // 00000000F6F8: D3B2406E 1802BD6E
	v_pk_add_f32 v[112:113], v[112:113], v[96:97]              // 00000000F700: D3B24070 1802C170
	v_pk_add_f32 v[114:115], v[114:115], v[98:99]              // 00000000F708: D3B24072 1802C572
	v_pk_add_f32 v[116:117], v[116:117], v[100:101]            // 00000000F710: D3B24074 1802C974
	v_pk_add_f32 v[118:119], v[118:119], v[102:103]            // 00000000F718: D3B24076 1802CD76
	v_pk_add_f32 v[120:121], v[120:121], v[104:105]            // 00000000F720: D3B24078 1802D178
	v_pk_add_f32 v[122:123], v[122:123], v[106:107]            // 00000000F728: D3B2407A 1802D57A
	s_waitcnt lgkmcnt(0)                                       // 00000000F730: BF8CC07F
	v_mov_b64_e32 v[144:145], 0                                // 00000000F734: 7F207080
	v_pk_add_f32 v[144:145], v[152:153], v[144:145]            // 00000000F738: D3B24090 18032198
	v_pk_add_f32 v[144:145], v[154:155], v[144:145]            // 00000000F740: D3B24090 1803219A
	v_pk_add_f32 v[144:145], v[156:157], v[144:145]            // 00000000F748: D3B24090 1803219C
	v_pk_add_f32 v[144:145], v[158:159], v[144:145]            // 00000000F750: D3B24090 1803219E
	v_pk_add_f32 v[144:145], v[160:161], v[144:145]            // 00000000F758: D3B24090 180321A0
	v_pk_add_f32 v[144:145], v[162:163], v[144:145]            // 00000000F760: D3B24090 180321A2
	v_pk_add_f32 v[144:145], v[164:165], v[144:145]            // 00000000F768: D3B24090 180321A4
	v_pk_add_f32 v[144:145], v[166:167], v[144:145]            // 00000000F770: D3B24090 180321A6
	v_pk_add_f32 v[144:145], v[168:169], v[144:145]            // 00000000F778: D3B24090 180321A8
	v_pk_add_f32 v[144:145], v[170:171], v[144:145]            // 00000000F780: D3B24090 180321AA
	v_pk_add_f32 v[144:145], v[172:173], v[144:145]            // 00000000F788: D3B24090 180321AC
	v_pk_add_f32 v[144:145], v[174:175], v[144:145]            // 00000000F790: D3B24090 180321AE
	v_pk_add_f32 v[144:145], v[176:177], v[144:145]            // 00000000F798: D3B24090 180321B0
	v_pk_add_f32 v[144:145], v[178:179], v[144:145]            // 00000000F7A0: D3B24090 180321B2
	v_pk_add_f32 v[144:145], v[180:181], v[144:145]            // 00000000F7A8: D3B24090 180321B4
	v_pk_add_f32 v[144:145], v[182:183], v[144:145]            // 00000000F7B0: D3B24090 180321B6
	v_rcp_f32_e32 v145, v145                                   // 00000000F7B8: 7F224591
	v_rcp_f32_e32 v144, v144                                   // 00000000F7BC: 7F204590
	v_mov_b32_e32 v146, v145                                   // 00000000F7C0: 7F240391
	v_mov_b32_e32 v147, v145                                   // 00000000F7C4: 7F260391
	v_mov_b32_e32 v145, v144                                   // 00000000F7C8: 7F220390
	v_pk_mul_f32 v[108:109], v[144:145], v[108:109]            // 00000000F7CC: D3B1406C 1802D990
	v_pk_mul_f32 v[110:111], v[144:145], v[110:111]            // 00000000F7D4: D3B1406E 1802DD90
	v_pk_mul_f32 v[112:113], v[144:145], v[112:113]            // 00000000F7DC: D3B14070 1802E190
	v_pk_mul_f32 v[114:115], v[144:145], v[114:115]            // 00000000F7E4: D3B14072 1802E590
	v_pk_mul_f32 v[116:117], v[146:147], v[116:117]            // 00000000F7EC: D3B14074 1802E992
	v_pk_mul_f32 v[118:119], v[146:147], v[118:119]            // 00000000F7F4: D3B14076 1802ED92
	v_pk_mul_f32 v[120:121], v[146:147], v[120:121]            // 00000000F7FC: D3B14078 1802F192
	v_pk_mul_f32 v[122:123], v[146:147], v[122:123]            // 00000000F804: D3B1407A 1802F592
	v_cmp_u_f32_e64 s[92:93], v108, v108                       // 00000000F80C: D048005C 0002D96C
	v_add3_u32 v188, v108, v191, 1                             // 00000000F814: D1FF00BC 02077F6C
	v_cndmask_b32_e64 v184, v188, v190, s[92:93]               // 00000000F81C: D10000B8 01737DBC
	v_cmp_u_f32_e64 s[92:93], v109, v109                       // 00000000F824: D048005C 0002DB6D
	v_add3_u32 v188, v109, v191, 1                             // 00000000F82C: D1FF00BC 02077F6D
	v_cndmask_b32_e64 v185, v188, v190, s[92:93]               // 00000000F834: D10000B9 01737DBC
	v_perm_b32 v108, v185, v184, s42                           // 00000000F83C: D1ED006C 00AB71B9
	v_cmp_u_f32_e64 s[92:93], v110, v110                       // 00000000F844: D048005C 0002DD6E
	v_add3_u32 v188, v110, v191, 1                             // 00000000F84C: D1FF00BC 02077F6E
	v_cndmask_b32_e64 v184, v188, v190, s[92:93]               // 00000000F854: D10000B8 01737DBC
	v_cmp_u_f32_e64 s[92:93], v111, v111                       // 00000000F85C: D048005C 0002DF6F
	v_add3_u32 v188, v111, v191, 1                             // 00000000F864: D1FF00BC 02077F6F
	v_cndmask_b32_e64 v185, v188, v190, s[92:93]               // 00000000F86C: D10000B9 01737DBC
	v_perm_b32 v109, v185, v184, s42                           // 00000000F874: D1ED006D 00AB71B9
	v_cmp_u_f32_e64 s[92:93], v112, v112                       // 00000000F87C: D048005C 0002E170
	v_add3_u32 v188, v112, v191, 1                             // 00000000F884: D1FF00BC 02077F70
	v_cndmask_b32_e64 v184, v188, v190, s[92:93]               // 00000000F88C: D10000B8 01737DBC
	v_cmp_u_f32_e64 s[92:93], v113, v113                       // 00000000F894: D048005C 0002E371
	v_add3_u32 v188, v113, v191, 1                             // 00000000F89C: D1FF00BC 02077F71
	v_cndmask_b32_e64 v185, v188, v190, s[92:93]               // 00000000F8A4: D10000B9 01737DBC
	v_perm_b32 v110, v185, v184, s42                           // 00000000F8AC: D1ED006E 00AB71B9
	v_cmp_u_f32_e64 s[92:93], v114, v114                       // 00000000F8B4: D048005C 0002E572
	v_add3_u32 v188, v114, v191, 1                             // 00000000F8BC: D1FF00BC 02077F72
	v_cndmask_b32_e64 v184, v188, v190, s[92:93]               // 00000000F8C4: D10000B8 01737DBC
	v_cmp_u_f32_e64 s[92:93], v115, v115                       // 00000000F8CC: D048005C 0002E773
	v_add3_u32 v188, v115, v191, 1                             // 00000000F8D4: D1FF00BC 02077F73
	v_cndmask_b32_e64 v185, v188, v190, s[92:93]               // 00000000F8DC: D10000B9 01737DBC
	v_perm_b32 v111, v185, v184, s42                           // 00000000F8E4: D1ED006F 00AB71B9
	v_cmp_u_f32_e64 s[92:93], v116, v116                       // 00000000F8EC: D048005C 0002E974
	v_add3_u32 v188, v116, v191, 1                             // 00000000F8F4: D1FF00BC 02077F74
	v_cndmask_b32_e64 v184, v188, v190, s[92:93]               // 00000000F8FC: D10000B8 01737DBC
	v_cmp_u_f32_e64 s[92:93], v117, v117                       // 00000000F904: D048005C 0002EB75
	v_add3_u32 v188, v117, v191, 1                             // 00000000F90C: D1FF00BC 02077F75
	v_cndmask_b32_e64 v185, v188, v190, s[92:93]               // 00000000F914: D10000B9 01737DBC
	v_perm_b32 v112, v185, v184, s42                           // 00000000F91C: D1ED0070 00AB71B9
	v_cmp_u_f32_e64 s[92:93], v118, v118                       // 00000000F924: D048005C 0002ED76
	v_add3_u32 v188, v118, v191, 1                             // 00000000F92C: D1FF00BC 02077F76
	v_cndmask_b32_e64 v184, v188, v190, s[92:93]               // 00000000F934: D10000B8 01737DBC
	v_cmp_u_f32_e64 s[92:93], v119, v119                       // 00000000F93C: D048005C 0002EF77
	v_add3_u32 v188, v119, v191, 1                             // 00000000F944: D1FF00BC 02077F77
	v_cndmask_b32_e64 v185, v188, v190, s[92:93]               // 00000000F94C: D10000B9 01737DBC
	v_perm_b32 v113, v185, v184, s42                           // 00000000F954: D1ED0071 00AB71B9
	v_cmp_u_f32_e64 s[92:93], v120, v120                       // 00000000F95C: D048005C 0002F178
	v_add3_u32 v188, v120, v191, 1                             // 00000000F964: D1FF00BC 02077F78
	v_cndmask_b32_e64 v184, v188, v190, s[92:93]               // 00000000F96C: D10000B8 01737DBC
	v_cmp_u_f32_e64 s[92:93], v121, v121                       // 00000000F974: D048005C 0002F379
	v_add3_u32 v188, v121, v191, 1                             // 00000000F97C: D1FF00BC 02077F79
	v_cndmask_b32_e64 v185, v188, v190, s[92:93]               // 00000000F984: D10000B9 01737DBC
	v_perm_b32 v114, v185, v184, s42                           // 00000000F98C: D1ED0072 00AB71B9
	v_cmp_u_f32_e64 s[92:93], v122, v122                       // 00000000F994: D048005C 0002F57A
	v_add3_u32 v188, v122, v191, 1                             // 00000000F99C: D1FF00BC 02077F7A
	v_cndmask_b32_e64 v184, v188, v190, s[92:93]               // 00000000F9A4: D10000B8 01737DBC
	v_cmp_u_f32_e64 s[92:93], v123, v123                       // 00000000F9AC: D048005C 0002F77B
	v_add3_u32 v188, v123, v191, 1                             // 00000000F9B4: D1FF00BC 02077F7B
	v_cndmask_b32_e64 v185, v188, v190, s[92:93]               // 00000000F9BC: D10000B9 01737DBC
	v_perm_b32 v115, v185, v184, s42                           // 00000000F9C4: D1ED0073 00AB71B9
	ds_write_b64 v212, v[108:109] offset:4608                  // 00000000F9CC: D89A1200 00006CD4
	ds_write_b64 v212, v[110:111] offset:6912                  // 00000000F9D4: D89A1B00 00006ED4
	ds_write_b64 v212, v[112:113] offset:9216                  // 00000000F9DC: D89A2400 000070D4
	ds_write_b64 v212, v[114:115] offset:11520                 // 00000000F9E4: D89A2D00 000072D4
	s_waitcnt lgkmcnt(0)                                       // 00000000F9EC: BF8CC07F
	s_barrier                                                  // 00000000F9F0: BF8A0000
	ds_read_b128 v[108:111], v213 offset:4608                  // 00000000F9F4: D9FE1200 6C0000D5
	ds_read_b128 v[112:115], v213 offset:9216                  // 00000000F9FC: D9FE2400 700000D5
	s_waitcnt lgkmcnt(1)                                       // 00000000FA04: BF8CC17F
	buffer_store_dwordx4 v[108:111], v198, s[4:7], 0 offen     // 00000000FA08: E07C1000 80016CC6
	s_waitcnt lgkmcnt(0)                                       // 00000000FA10: BF8CC07F
	buffer_store_dwordx4 v[112:115], v199, s[4:7], 0 offen     // 00000000FA14: E07C1000 800170C7
	s_waitcnt vmcnt(0) expcnt(0) lgkmcnt(0)                    // 00000000FA1C: BF8C0000
	s_endpgm                                                   // 00000000FA20: BF810000
